;; amdgpu-corpus repo=ROCm/rocFFT kind=compiled arch=gfx1201 opt=O3
	.text
	.amdgcn_target "amdgcn-amd-amdhsa--gfx1201"
	.amdhsa_code_object_version 6
	.protected	bluestein_single_back_len3375_dim1_sp_op_CI_CI ; -- Begin function bluestein_single_back_len3375_dim1_sp_op_CI_CI
	.globl	bluestein_single_back_len3375_dim1_sp_op_CI_CI
	.p2align	8
	.type	bluestein_single_back_len3375_dim1_sp_op_CI_CI,@function
bluestein_single_back_len3375_dim1_sp_op_CI_CI: ; @bluestein_single_back_len3375_dim1_sp_op_CI_CI
; %bb.0:
	s_load_b128 s[16:19], s[0:1], 0x28
	v_mul_u32_u24_e32 v1, 0x124, v0
	s_mov_b32 s2, exec_lo
	v_mov_b32_e32 v155, 0
	s_delay_alu instid0(VALU_DEP_2) | instskip(NEXT) | instid1(VALU_DEP_1)
	v_lshrrev_b32_e32 v1, 16, v1
	v_add_nc_u32_e32 v154, ttmp9, v1
	s_wait_kmcnt 0x0
	s_delay_alu instid0(VALU_DEP_1)
	v_cmpx_gt_u64_e64 s[16:17], v[154:155]
	s_cbranch_execz .LBB0_2
; %bb.1:
	s_clause 0x1
	s_load_b128 s[4:7], s[0:1], 0x18
	s_load_b128 s[8:11], s[0:1], 0x0
	v_mul_lo_u16 v1, 0xe1, v1
	s_delay_alu instid0(VALU_DEP_1) | instskip(NEXT) | instid1(VALU_DEP_1)
	v_sub_nc_u16 v88, v0, v1
	v_and_b32_e32 v166, 0xffff, v88
	v_mul_lo_u16 v30, v88, 5
	s_wait_kmcnt 0x0
	s_load_b128 s[12:15], s[4:5], 0x0
	s_wait_kmcnt 0x0
	v_mad_co_u64_u32 v[0:1], null, s14, v154, 0
	v_mad_co_u64_u32 v[2:3], null, s12, v166, 0
	s_mul_u64 s[2:3], s[12:13], 0x1518
	s_mul_i32 s4, s13, 0xffffb2a8
	s_delay_alu instid0(SALU_CYCLE_1) | instskip(NEXT) | instid1(VALU_DEP_1)
	s_sub_co_i32 s4, s4, s12
	v_mad_co_u64_u32 v[4:5], null, s15, v154, v[1:2]
	s_delay_alu instid0(VALU_DEP_1) | instskip(NEXT) | instid1(VALU_DEP_3)
	v_mov_b32_e32 v1, v4
	v_mad_co_u64_u32 v[5:6], null, s13, v166, v[3:4]
	v_lshlrev_b32_e32 v159, 3, v166
	s_clause 0x2
	global_load_b64 v[128:129], v159, s[8:9] offset:5400
	global_load_b64 v[126:127], v159, s[8:9] offset:10800
	;; [unrolled: 1-line block ×3, first 2 shown]
	v_dual_mov_b32 v3, v5 :: v_dual_add_nc_u32 v160, 0x1c00, v159
	v_lshlrev_b64_e32 v[0:1], 3, v[0:1]
	s_clause 0x2
	global_load_b64 v[130:131], v159, s[8:9] offset:21600
	global_load_b64 v[136:137], v159, s[8:9]
	global_load_b64 v[132:133], v159, s[8:9] offset:1800
	v_lshlrev_b64_e32 v[2:3], 3, v[2:3]
	v_add_co_u32 v94, null, 0x1c2, v166
	v_add_co_u32 v0, vcc_lo, s18, v0
	v_add_co_ci_u32_e32 v1, vcc_lo, s19, v1, vcc_lo
	s_delay_alu instid0(VALU_DEP_2) | instskip(SKIP_1) | instid1(VALU_DEP_2)
	v_add_co_u32 v0, vcc_lo, v0, v2
	s_wait_alu 0xfffd
	v_add_co_ci_u32_e32 v1, vcc_lo, v1, v3, vcc_lo
	s_delay_alu instid0(VALU_DEP_2) | instskip(SKIP_1) | instid1(VALU_DEP_2)
	v_add_co_u32 v2, vcc_lo, v0, s2
	s_wait_alu 0xfffd
	v_add_co_ci_u32_e32 v3, vcc_lo, s3, v1, vcc_lo
	global_load_b64 v[0:1], v[0:1], off
	global_load_b64 v[134:135], v159, s[8:9] offset:7200
	v_add_co_u32 v6, vcc_lo, v2, s2
	s_wait_alu 0xfffd
	v_add_co_ci_u32_e32 v7, vcc_lo, s3, v3, vcc_lo
	global_load_b64 v[4:5], v[2:3], off
	v_add_co_u32 v8, vcc_lo, v6, s2
	s_wait_alu 0xfffd
	v_add_co_ci_u32_e32 v9, vcc_lo, s3, v7, vcc_lo
	s_clause 0x1
	global_load_b64 v[6:7], v[6:7], off
	global_load_b64 v[2:3], v[8:9], off
	v_add_co_u32 v10, vcc_lo, v8, s2
	s_wait_alu 0xfffd
	v_add_co_ci_u32_e32 v11, vcc_lo, s3, v9, vcc_lo
	v_and_b32_e32 v31, 0xff, v88
	v_and_b32_e32 v33, 0xffff, v30
	s_delay_alu instid0(VALU_DEP_3)
	v_mad_co_u64_u32 v[12:13], null, 0xffffb2a8, s12, v[10:11]
	global_load_b64 v[10:11], v[10:11], off
	v_mul_lo_u16 v30, 0xcd, v31
	v_and_b32_e32 v49, 0xffff, v94
	v_add_nc_u32_e32 v13, s4, v13
	v_add_co_u32 v14, vcc_lo, v12, s2
	s_delay_alu instid0(VALU_DEP_4) | instskip(NEXT) | instid1(VALU_DEP_1)
	v_lshrrev_b16 v30, 10, v30
	v_mul_lo_u16 v34, v30, 5
	s_delay_alu instid0(VALU_DEP_1) | instskip(SKIP_4) | instid1(VALU_DEP_2)
	v_sub_nc_u16 v39, v88, v34
	s_wait_loadcnt 0x5
	v_mul_f32_e32 v35, v1, v137
	v_mul_f32_e32 v37, v0, v137
	s_wait_loadcnt 0x3
	v_dual_fmac_f32 v35, v0, v136 :: v_dual_mul_f32 v0, v5, v129
	v_add_nc_u32_e32 v164, 0x2a00, v159
	s_delay_alu instid0(VALU_DEP_2)
	v_fmac_f32_e32 v0, v4, v128
	s_wait_loadcnt 0x2
	v_mul_f32_e32 v38, v6, v127
	s_wait_alu 0xfffd
	v_add_co_ci_u32_e32 v15, vcc_lo, s3, v13, vcc_lo
	v_add_co_u32 v16, vcc_lo, v14, s2
	global_load_b64 v[12:13], v[12:13], off
	s_wait_alu 0xfffd
	v_add_co_ci_u32_e32 v17, vcc_lo, s3, v15, vcc_lo
	v_add_co_u32 v18, vcc_lo, v16, s2
	s_clause 0x1
	global_load_b64 v[138:139], v159, s[8:9] offset:12600
	global_load_b64 v[140:141], v159, s[8:9] offset:23400
	global_load_b64 v[8:9], v[14:15], off
	s_wait_alu 0xfffd
	v_add_co_ci_u32_e32 v19, vcc_lo, s3, v17, vcc_lo
	v_add_co_u32 v20, vcc_lo, v18, s2
	s_clause 0x3
	global_load_b64 v[142:143], v159, s[8:9] offset:3600
	global_load_b64 v[146:147], v159, s[8:9] offset:9000
	;; [unrolled: 1-line block ×4, first 2 shown]
	global_load_b64 v[24:25], v[16:17], off
	global_load_b64 v[150:151], v159, s[8:9] offset:14400
	global_load_b64 v[22:23], v[18:19], off
	s_wait_alu 0xfffd
	v_add_co_ci_u32_e32 v21, vcc_lo, s3, v19, vcc_lo
	v_fma_f32 v38, v7, v126, -v38
	v_add_nc_u32_e32 v109, 0x3100, v159
	v_add_nc_u32_e32 v161, 0x4600, v159
	s_delay_alu instid0(VALU_DEP_4)
	v_mad_co_u64_u32 v[14:15], null, 0xffffb2a8, s12, v[20:21]
	global_load_b64 v[20:21], v[20:21], off
	v_add_nc_u32_e32 v162, 0x3800, v159
	v_add_nc_u32_e32 v15, s4, v15
	v_add_co_u32 v18, vcc_lo, v14, s2
	s_wait_alu 0xfffd
	s_delay_alu instid0(VALU_DEP_2)
	v_add_co_ci_u32_e32 v19, vcc_lo, s3, v15, vcc_lo
	global_load_b64 v[16:17], v[14:15], off
	v_add_co_u32 v14, vcc_lo, v18, s2
	s_wait_alu 0xfffd
	v_add_co_ci_u32_e32 v15, vcc_lo, s3, v19, vcc_lo
	global_load_b64 v[18:19], v[18:19], off
	v_add_co_u32 v26, vcc_lo, v14, s2
	s_wait_alu 0xfffd
	;; [unrolled: 4-line block ×3, first 2 shown]
	v_add_co_ci_u32_e32 v29, vcc_lo, s3, v27, vcc_lo
	global_load_b64 v[26:27], v[26:27], off
	global_load_b64 v[152:153], v159, s[8:9] offset:25200
	global_load_b64 v[28:29], v[28:29], off
	v_add_co_u32 v95, s2, 0xe1, v166
	s_load_b128 s[4:7], s[6:7], 0x0
	v_cmp_gt_u16_e32 vcc_lo, 0x7d, v88
	v_add_co_ci_u32_e64 v70, null, 0, 0, s2
	s_delay_alu instid0(VALU_DEP_3) | instskip(NEXT) | instid1(VALU_DEP_1)
	v_and_b32_e32 v48, 0xffff, v95
	v_mul_u32_u24_e32 v32, 0xcccd, v48
	s_delay_alu instid0(VALU_DEP_1) | instskip(NEXT) | instid1(VALU_DEP_1)
	v_lshrrev_b32_e32 v32, 18, v32
	v_mul_lo_u16 v36, v32, 5
	s_delay_alu instid0(VALU_DEP_1)
	v_sub_nc_u16 v34, v95, v36
	v_fma_f32 v36, v1, v136, -v37
	v_mul_f32_e32 v1, v4, v129
	s_wait_loadcnt 0x13
	v_mul_f32_e32 v4, v3, v125
	v_mul_f32_e32 v37, v7, v127
	s_wait_loadcnt 0x12
	v_mul_f32_e32 v7, v10, v131
	v_add_nc_u32_e32 v108, 0x5b00, v159
	v_fma_f32 v1, v5, v128, -v1
	v_fmac_f32_e32 v4, v2, v124
	v_dual_fmac_f32 v37, v6, v126 :: v_dual_lshlrev_b32 v116, 3, v33
	v_dual_mul_f32 v5, v2, v125 :: v_dual_mul_f32 v2, v11, v131
	v_add_nc_u32_e32 v163, 0xe00, v159
	v_mul_u32_u24_e32 v33, 0xcccd, v49
	s_delay_alu instid0(VALU_DEP_3) | instskip(NEXT) | instid1(VALU_DEP_4)
	v_fma_f32 v5, v3, v124, -v5
	v_fmac_f32_e32 v2, v10, v130
	v_fma_f32 v3, v11, v130, -v7
	ds_store_b64 v159, v[0:1] offset:5400
	ds_store_b64 v159, v[37:38] offset:10800
	;; [unrolled: 1-line block ×4, first 2 shown]
	v_lshrrev_b32_e32 v33, 18, v33
	s_wait_loadcnt 0x11
	v_mul_f32_e32 v6, v13, v133
	v_dual_mul_f32 v40, v12, v133 :: v_dual_add_nc_u32 v165, 0x5400, v159
	s_delay_alu instid0(VALU_DEP_2) | instskip(SKIP_2) | instid1(VALU_DEP_3)
	v_fmac_f32_e32 v6, v12, v132
	s_wait_loadcnt 0xe
	v_mul_f32_e32 v11, v8, v135
	v_fma_f32 v7, v13, v132, -v40
	v_mul_f32_e32 v10, v9, v135
	s_wait_loadcnt 0x7
	v_dual_mul_f32 v1, v24, v139 :: v_dual_mul_f32 v2, v23, v149
	v_mul_f32_e32 v0, v25, v139
	ds_store_2addr_b64 v159, v[35:36], v[6:7] offset1:225
	v_fmac_f32_e32 v10, v8, v134
	v_fma_f32 v11, v9, v134, -v11
	v_fmac_f32_e32 v2, v22, v148
	v_dual_mul_f32 v3, v22, v149 :: v_dual_fmac_f32 v0, v24, v138
	s_wait_loadcnt 0x6
	v_mul_f32_e32 v4, v21, v141
	v_mul_f32_e32 v5, v20, v141
	v_fma_f32 v1, v25, v138, -v1
	v_fma_f32 v3, v23, v148, -v3
	v_mul_lo_u16 v22, v33, 5
	v_fmac_f32_e32 v4, v20, v140
	v_fma_f32 v5, v21, v140, -v5
	v_mul_u32_u24_e32 v21, 5, v94
	v_mul_u32_u24_e32 v20, 5, v95
	v_lshlrev_b16 v23, 2, v34
	v_sub_nc_u16 v24, v94, v22
	v_and_b32_e32 v25, 0xff, v39
	s_wait_loadcnt 0x5
	v_dual_mul_f32 v6, v17, v143 :: v_dual_lshlrev_b32 v117, 3, v21
	s_wait_loadcnt 0x4
	s_delay_alu instid0(VALU_DEP_2) | instskip(SKIP_2) | instid1(VALU_DEP_3)
	v_dual_mul_f32 v8, v19, v147 :: v_dual_lshlrev_b32 v37, 5, v25
	v_mul_f32_e32 v7, v16, v143
	v_mul_f32_e32 v9, v18, v147
	v_fmac_f32_e32 v8, v18, v146
	s_wait_loadcnt 0x3
	v_mul_f32_e32 v12, v15, v151
	v_fma_f32 v7, v17, v142, -v7
	v_mul_f32_e32 v13, v14, v151
	s_wait_loadcnt 0x2
	v_dual_mul_f32 v17, v26, v145 :: v_dual_fmac_f32 v6, v16, v142
	s_wait_loadcnt 0x0
	v_mul_f32_e32 v16, v29, v153
	v_fmac_f32_e32 v12, v14, v150
	v_mul_f32_e32 v14, v27, v145
	v_mul_f32_e32 v18, v28, v153
	v_fma_f32 v9, v19, v146, -v9
	v_fma_f32 v13, v15, v150, -v13
	;; [unrolled: 1-line block ×3, first 2 shown]
	v_fmac_f32_e32 v14, v26, v144
	v_fmac_f32_e32 v16, v28, v152
	v_fma_f32 v17, v29, v152, -v18
	ds_store_b64 v159, v[6:7] offset:3600
	ds_store_2addr_b64 v160, v[10:11], v[8:9] offset0:4 offset1:229
	ds_store_2addr_b64 v109, v[0:1], v[12:13] offset0:7 offset1:232
	;; [unrolled: 1-line block ×4, first 2 shown]
	global_wb scope:SCOPE_SE
	s_wait_dscnt 0x0
	s_wait_kmcnt 0x0
	s_barrier_signal -1
	s_barrier_wait -1
	global_inv scope:SCOPE_SE
	ds_load_2addr_b64 v[0:3], v159 offset1:225
	ds_load_2addr_b64 v[4:7], v163 offset0:2 offset1:227
	ds_load_2addr_b64 v[8:11], v164 offset0:6 offset1:231
	;; [unrolled: 1-line block ×4, first 2 shown]
	v_lshlrev_b32_e32 v118, 3, v20
	v_and_b32_e32 v38, 0xffff, v23
	ds_load_2addr_b64 v[20:23], v160 offset0:4 offset1:229
	ds_load_2addr_b64 v[26:29], v161 offset0:10 offset1:235
	ds_load_b64 v[35:36], v159 offset:25200
	global_wb scope:SCOPE_SE
	s_wait_dscnt 0x0
	s_barrier_signal -1
	s_barrier_wait -1
	global_inv scope:SCOPE_SE
	v_add_f32_e32 v39, v0, v6
	v_dual_sub_f32 v43, v6, v8 :: v_dual_add_f32 v40, v8, v14
	v_sub_f32_e32 v47, v14, v16
	v_dual_add_f32 v51, v9, v15 :: v_dual_sub_f32 v44, v16, v14
	v_sub_f32_e32 v57, v9, v7
	v_dual_add_f32 v45, v6, v16 :: v_dual_add_f32 v50, v1, v7
	v_dual_sub_f32 v63, v20, v10 :: v_dual_add_f32 v56, v7, v17
	v_sub_f32_e32 v71, v20, v18
	v_dual_add_f32 v60, v10, v26 :: v_dual_add_f32 v69, v11, v27
	v_dual_sub_f32 v42, v9, v15 :: v_dual_add_f32 v59, v2, v20
	v_dual_sub_f32 v46, v8, v6 :: v_dual_sub_f32 v61, v21, v19
	v_dual_sub_f32 v52, v6, v16 :: v_dual_add_f32 v65, v20, v18
	v_dual_sub_f32 v54, v7, v9 :: v_dual_sub_f32 v67, v26, v18
	v_dual_sub_f32 v55, v17, v15 :: v_dual_sub_f32 v58, v15, v17
	v_add_f32_e32 v77, v12, v28
	v_sub_f32_e32 v66, v10, v20
	v_dual_add_f32 v68, v3, v21 :: v_dual_sub_f32 v83, v12, v22
	v_dual_sub_f32 v20, v21, v11 :: v_dual_sub_f32 v81, v35, v28
	v_dual_add_f32 v74, v21, v19 :: v_dual_sub_f32 v89, v12, v28
	v_dual_add_f32 v76, v4, v22 :: v_dual_add_f32 v85, v5, v23
	v_sub_f32_e32 v80, v22, v12
	v_dual_add_f32 v82, v22, v35 :: v_dual_add_f32 v91, v23, v36
	v_add_f32_e32 v86, v13, v29
	v_dual_sub_f32 v41, v7, v17 :: v_dual_sub_f32 v72, v10, v26
	v_sub_f32_e32 v75, v27, v19
	v_dual_sub_f32 v21, v11, v21 :: v_dual_sub_f32 v84, v28, v35
	v_add_f32_e32 v39, v39, v8
	v_fma_f32 v6, -0.5, v40, v0
	v_fma_f32 v7, -0.5, v51, v1
	v_sub_f32_e32 v53, v8, v14
	v_dual_sub_f32 v64, v18, v26 :: v_dual_sub_f32 v73, v19, v27
	v_dual_sub_f32 v78, v23, v36 :: v_dual_sub_f32 v87, v22, v35
	;; [unrolled: 1-line block ×3, first 2 shown]
	v_dual_sub_f32 v92, v29, v36 :: v_dual_add_f32 v51, v66, v67
	v_add_f32_e32 v40, v43, v44
	v_fma_f32 v0, -0.5, v45, v0
	v_add_f32_e32 v44, v50, v9
	v_fma_f32 v1, -0.5, v56, v1
	v_fma_f32 v8, -0.5, v60, v2
	;; [unrolled: 1-line block ×3, first 2 shown]
	v_dual_fmac_f32 v3, -0.5, v74 :: v_dual_sub_f32 v62, v11, v27
	v_sub_f32_e32 v79, v13, v29
	v_dual_sub_f32 v90, v36, v29 :: v_dual_add_f32 v43, v46, v47
	v_add_f32_e32 v47, v59, v10
	v_dual_add_f32 v45, v54, v55 :: v_dual_add_f32 v46, v57, v58
	v_add_f32_e32 v57, v76, v12
	v_fma_f32 v2, -0.5, v65, v2
	v_dual_add_f32 v54, v68, v11 :: v_dual_add_f32 v59, v83, v84
	v_fma_f32 v10, -0.5, v77, v4
	v_add_f32_e32 v58, v80, v81
	v_fma_f32 v4, -0.5, v82, v4
	v_dual_add_f32 v60, v85, v13 :: v_dual_fmamk_f32 v13, v52, 0xbf737871, v7
	v_fma_f32 v11, -0.5, v86, v5
	v_fmac_f32_e32 v5, -0.5, v91
	v_dual_add_f32 v56, v21, v75 :: v_dual_add_f32 v39, v39, v14
	v_dual_fmamk_f32 v12, v41, 0x3f737871, v6 :: v_dual_fmac_f32 v7, 0x3f737871, v52
	v_dual_add_f32 v50, v63, v64 :: v_dual_add_f32 v63, v22, v90
	v_add_f32_e32 v64, v23, v92
	v_dual_fmac_f32 v6, 0xbf737871, v41 :: v_dual_add_f32 v47, v47, v26
	v_fmamk_f32 v14, v42, 0xbf737871, v0
	v_fmac_f32_e32 v0, 0x3f737871, v42
	v_dual_add_f32 v44, v44, v15 :: v_dual_fmamk_f32 v21, v71, 0xbf737871, v9
	v_fmamk_f32 v15, v53, 0x3f737871, v1
	v_fmac_f32_e32 v1, 0xbf737871, v53
	v_dual_add_f32 v55, v20, v73 :: v_dual_fmamk_f32 v20, v61, 0x3f737871, v8
	v_fmamk_f32 v23, v72, 0x3f737871, v3
	v_dual_fmac_f32 v8, 0xbf737871, v61 :: v_dual_fmac_f32 v3, 0xbf737871, v72
	v_dual_fmamk_f32 v22, v62, 0xbf737871, v2 :: v_dual_add_f32 v57, v57, v28
	v_fmac_f32_e32 v2, 0x3f737871, v62
	v_fmamk_f32 v26, v78, 0x3f737871, v10
	v_fmac_f32_e32 v10, 0xbf737871, v78
	v_dual_fmamk_f32 v28, v79, 0xbf737871, v4 :: v_dual_add_f32 v17, v44, v17
	v_fmac_f32_e32 v4, 0x3f737871, v79
	v_dual_add_f32 v60, v60, v29 :: v_dual_fmac_f32 v15, 0xbf167918, v52
	v_fmamk_f32 v29, v89, 0x3f737871, v5
	v_dual_fmac_f32 v5, 0xbf737871, v89 :: v_dual_add_f32 v54, v54, v27
	v_fmamk_f32 v27, v87, 0xbf737871, v11
	v_fmac_f32_e32 v9, 0x3f737871, v71
	v_dual_fmac_f32 v11, 0x3f737871, v87 :: v_dual_add_f32 v16, v39, v16
	v_fmac_f32_e32 v13, 0xbf167918, v53
	v_dual_fmac_f32 v12, 0x3f167918, v42 :: v_dual_fmac_f32 v7, 0x3f167918, v53
	v_dual_fmac_f32 v6, 0xbf167918, v42 :: v_dual_add_f32 v19, v54, v19
	v_dual_fmac_f32 v14, 0x3f167918, v41 :: v_dual_fmac_f32 v1, 0x3f167918, v52
	v_dual_fmac_f32 v0, 0xbf167918, v41 :: v_dual_fmac_f32 v21, 0xbf167918, v72
	;; [unrolled: 1-line block ×4, first 2 shown]
	v_dual_fmac_f32 v22, 0x3f167918, v61 :: v_dual_add_f32 v35, v57, v35
	v_dual_fmac_f32 v2, 0xbf167918, v61 :: v_dual_fmac_f32 v29, 0xbf167918, v87
	v_dual_fmac_f32 v28, 0x3f167918, v78 :: v_dual_fmac_f32 v5, 0x3f167918, v87
	v_fmac_f32_e32 v4, 0xbf167918, v78
	v_dual_add_f32 v18, v47, v18 :: v_dual_fmac_f32 v9, 0x3f167918, v72
	v_dual_fmac_f32 v26, 0x3f167918, v79 :: v_dual_fmac_f32 v11, 0x3f167918, v89
	v_dual_fmac_f32 v10, 0xbf167918, v79 :: v_dual_fmac_f32 v27, 0xbf167918, v89
	v_dual_add_f32 v36, v60, v36 :: v_dual_fmac_f32 v13, 0x3e9e377a, v45
	v_dual_fmac_f32 v12, 0x3e9e377a, v40 :: v_dual_fmac_f32 v7, 0x3e9e377a, v45
	v_dual_fmac_f32 v6, 0x3e9e377a, v40 :: v_dual_fmac_f32 v15, 0x3e9e377a, v46
	;; [unrolled: 1-line block ×7, first 2 shown]
	v_fmac_f32_e32 v4, 0x3e9e377a, v59
	v_dual_fmac_f32 v8, 0x3e9e377a, v50 :: v_dual_fmac_f32 v9, 0x3e9e377a, v55
	v_dual_fmac_f32 v26, 0x3e9e377a, v58 :: v_dual_fmac_f32 v27, 0x3e9e377a, v63
	;; [unrolled: 1-line block ×4, first 2 shown]
	ds_store_2addr_b64 v116, v[16:17], v[12:13] offset1:1
	ds_store_2addr_b64 v116, v[14:15], v[0:1] offset0:2 offset1:3
	ds_store_b64 v116, v[6:7] offset:32
	ds_store_2addr_b64 v118, v[18:19], v[20:21] offset1:1
	ds_store_2addr_b64 v118, v[22:23], v[2:3] offset0:2 offset1:3
	ds_store_b64 v118, v[8:9] offset:32
	ds_store_b64 v117, v[10:11] offset:32
	ds_store_2addr_b64 v117, v[35:36], v[26:27] offset1:1
	ds_store_2addr_b64 v117, v[28:29], v[4:5] offset0:2 offset1:3
	global_wb scope:SCOPE_SE
	s_wait_dscnt 0x0
	s_barrier_signal -1
	s_barrier_wait -1
	global_inv scope:SCOPE_SE
	global_load_b128 v[4:7], v37, s[10:11] offset:16
	v_lshlrev_b16 v0, 2, v24
	v_lshlrev_b32_e32 v1, 3, v38
	global_load_b128 v[20:23], v37, s[10:11]
	v_mul_u32_u24_e32 v27, 0x47af, v49
	v_mul_u32_u24_e32 v26, 0x47af, v48
	v_mul_lo_u16 v28, v31, 41
	global_load_b128 v[16:19], v1, s[10:11]
	v_and_b32_e32 v0, 0xffff, v0
	v_lshrrev_b32_e32 v27, 16, v27
	v_lshrrev_b32_e32 v26, 16, v26
	v_lshrrev_b16 v54, 10, v28
	v_and_b32_e32 v30, 0xffff, v30
	v_lshlrev_b32_e32 v0, 3, v0
	s_clause 0x2
	global_load_b128 v[8:11], v1, s[10:11] offset:16
	global_load_b128 v[12:15], v0, s[10:11]
	global_load_b128 v[0:3], v0, s[10:11] offset:16
	v_sub_nc_u16 v29, v94, v27
	v_sub_nc_u16 v28, v95, v26
	v_mul_lo_u16 v31, v54, 25
	ds_load_2addr_b64 v[42:45], v160 offset0:4 offset1:229
	ds_load_2addr_b64 v[56:59], v161 offset0:10 offset1:235
	v_lshrrev_b16 v29, 1, v29
	v_lshrrev_b16 v28, 1, v28
	v_sub_nc_u16 v31, v88, v31
	v_mul_u32_u24_e32 v48, 0x625, v48
	v_mul_u32_u24_e32 v49, 0x625, v49
	v_add_nc_u16 v27, v29, v27
	v_add_nc_u16 v26, v28, v26
	v_mul_u32_u24_e32 v28, 25, v30
	s_delay_alu instid0(VALU_DEP_3) | instskip(NEXT) | instid1(VALU_DEP_3)
	v_lshrrev_b16 v52, 4, v27
	v_lshrrev_b16 v50, 4, v26
	s_delay_alu instid0(VALU_DEP_3) | instskip(SKIP_4) | instid1(VALU_DEP_2)
	v_add_lshl_u32 v167, v28, v25, 3
	v_mad_u16 v25, v32, 25, v34
	v_mad_u16 v34, v33, 25, v24
	v_mul_lo_u16 v38, v52, 25
	v_mul_lo_u16 v29, v50, 25
	v_sub_nc_u16 v55, v94, v38
	ds_load_2addr_b64 v[38:41], v165 offset0:12 offset1:237
	v_sub_nc_u16 v53, v95, v29
	v_and_b32_e32 v46, 0xffff, v25
	ds_load_2addr_b64 v[24:27], v163 offset0:2 offset1:227
	v_and_b32_e32 v51, 0xff, v31
	ds_load_2addr_b64 v[30:33], v164 offset0:6 offset1:231
	;; [unrolled: 2-line block ×3, first 2 shown]
	v_lshlrev_b16 v47, 5, v53
	s_delay_alu instid0(VALU_DEP_1)
	v_and_b32_e32 v64, 0xffff, v47
	s_wait_loadcnt_dscnt 0x503
	v_mul_f32_e32 v73, v38, v7
	v_lshlrev_b32_e32 v169, 3, v46
	ds_load_2addr_b64 v[60:63], v159 offset1:225
	ds_load_b64 v[46:47], v159 offset:25200
	s_wait_loadcnt_dscnt 0x404
	v_mul_f32_e32 v65, v27, v21
	s_wait_dscnt 0x3
	v_dual_mul_f32 v66, v26, v21 :: v_dual_mul_f32 v67, v31, v23
	s_wait_dscnt 0x2
	v_dual_mul_f32 v68, v30, v23 :: v_dual_mul_f32 v69, v37, v5
	v_dual_mul_f32 v71, v36, v5 :: v_dual_mul_f32 v72, v39, v7
	s_wait_loadcnt 0x3
	v_dual_mul_f32 v75, v42, v17 :: v_dual_lshlrev_b32 v28, 5, v51
	v_dual_mul_f32 v77, v32, v19 :: v_dual_lshlrev_b32 v168, 3, v29
	s_wait_loadcnt 0x2
	v_dual_mul_f32 v74, v43, v17 :: v_dual_mul_f32 v81, v40, v11
	s_wait_loadcnt 0x0
	v_dual_mul_f32 v76, v33, v19 :: v_dual_mul_f32 v87, v58, v1
	v_dual_mul_f32 v78, v57, v9 :: v_dual_mul_f32 v85, v34, v15
	;; [unrolled: 1-line block ×3, first 2 shown]
	v_dual_fmac_f32 v73, v39, v6 :: v_dual_mul_f32 v82, v45, v13
	s_wait_dscnt 0x0
	v_mul_f32_e32 v89, v47, v3
	v_dual_mul_f32 v83, v44, v13 :: v_dual_mul_f32 v84, v35, v15
	v_dual_fmac_f32 v71, v37, v4 :: v_dual_mul_f32 v86, v59, v1
	v_dual_fmac_f32 v77, v33, v18 :: v_dual_mul_f32 v90, v46, v3
	v_fmac_f32_e32 v75, v43, v16
	v_fma_f32 v26, v26, v20, -v65
	v_dual_fmac_f32 v66, v27, v20 :: v_dual_fmac_f32 v81, v41, v10
	v_fma_f32 v27, v30, v22, -v67
	v_dual_fmac_f32 v68, v31, v22 :: v_dual_fmac_f32 v79, v57, v8
	v_fma_f32 v36, v36, v4, -v69
	v_fma_f32 v65, v38, v6, -v72
	;; [unrolled: 1-line block ×7, first 2 shown]
	v_dual_fmac_f32 v83, v45, v12 :: v_dual_fmac_f32 v90, v47, v2
	v_fma_f32 v34, v34, v14, -v84
	v_fmac_f32_e32 v85, v35, v14
	v_fma_f32 v44, v58, v0, -v86
	v_dual_sub_f32 v58, v68, v71 :: v_dual_fmac_f32 v87, v59, v0
	v_add_f32_e32 v56, v66, v73
	v_fma_f32 v69, v46, v2, -v89
	v_dual_add_f32 v33, v60, v26 :: v_dual_sub_f32 v38, v65, v36
	v_add_f32_e32 v35, v27, v36
	v_dual_sub_f32 v37, v26, v27 :: v_dual_sub_f32 v72, v27, v36
	v_dual_add_f32 v39, v26, v65 :: v_dual_add_f32 v78, v32, v42
	v_dual_add_f32 v43, v61, v66 :: v_dual_sub_f32 v74, v71, v73
	v_dual_add_f32 v45, v68, v71 :: v_dual_add_f32 v76, v62, v30
	v_dual_sub_f32 v57, v66, v73 :: v_dual_sub_f32 v40, v27, v26
	v_dual_sub_f32 v41, v36, v65 :: v_dual_sub_f32 v46, v66, v68
	;; [unrolled: 1-line block ×3, first 2 shown]
	v_dual_sub_f32 v86, v67, v42 :: v_dual_add_f32 v89, v30, v67
	v_dual_sub_f32 v92, v42, v67 :: v_dual_sub_f32 v99, v75, v77
	v_dual_add_f32 v93, v63, v75 :: v_dual_sub_f32 v98, v32, v42
	v_dual_add_f32 v96, v77, v79 :: v_dual_add_f32 v101, v75, v81
	v_dual_sub_f32 v59, v26, v65 :: v_dual_sub_f32 v82, v77, v79
	v_dual_sub_f32 v47, v73, v71 :: v_dual_sub_f32 v80, v75, v81
	;; [unrolled: 1-line block ×4, first 2 shown]
	v_dual_add_f32 v104, v34, v44 :: v_dual_add_f32 v103, v24, v31
	v_dual_sub_f32 v110, v69, v44 :: v_dual_add_f32 v111, v31, v69
	v_dual_sub_f32 v112, v34, v31 :: v_dual_sub_f32 v113, v44, v69
	v_add_f32_e32 v114, v25, v83
	v_dual_add_f32 v115, v85, v87 :: v_dual_sub_f32 v120, v34, v44
	v_dual_sub_f32 v121, v83, v85 :: v_dual_add_f32 v156, v33, v27
	v_dual_add_f32 v123, v83, v90 :: v_dual_add_f32 v158, v40, v41
	v_fma_f32 v26, -0.5, v35, v60
	v_dual_add_f32 v157, v37, v38 :: v_dual_add_f32 v40, v76, v32
	v_fma_f32 v30, -0.5, v39, v60
	v_add_f32_e32 v37, v43, v68
	v_fma_f32 v27, -0.5, v45, v61
	v_dual_sub_f32 v106, v85, v87 :: v_dual_sub_f32 v107, v31, v34
	v_dual_sub_f32 v119, v31, v69 :: v_dual_sub_f32 v122, v90, v87
	v_fma_f32 v31, -0.5, v56, v61
	v_dual_sub_f32 v100, v81, v79 :: v_dual_sub_f32 v105, v83, v90
	v_dual_sub_f32 v83, v85, v83 :: v_dual_add_f32 v66, v66, v74
	v_dual_sub_f32 v155, v87, v90 :: v_dual_add_f32 v68, v46, v47
	v_fma_f32 v32, -0.5, v78, v62
	v_fma_f32 v62, -0.5, v89, v62
	v_dual_add_f32 v76, v91, v92 :: v_dual_add_f32 v41, v93, v77
	v_fma_f32 v33, -0.5, v96, v63
	v_dual_fmac_f32 v63, -0.5, v101 :: v_dual_add_f32 v78, v107, v110
	v_add_f32_e32 v74, v84, v86
	v_dual_add_f32 v75, v75, v102 :: v_dual_add_f32 v56, v156, v36
	v_dual_add_f32 v45, v103, v34 :: v_dual_fmamk_f32 v36, v57, 0x3f737871, v26
	v_fma_f32 v34, -0.5, v104, v24
	v_fma_f32 v24, -0.5, v111, v24
	v_add_f32_e32 v47, v114, v85
	v_fma_f32 v35, -0.5, v115, v25
	v_dual_fmac_f32 v25, -0.5, v123 :: v_dual_fmamk_f32 v38, v58, 0xbf737871, v30
	v_fmac_f32_e32 v30, 0x3f737871, v58
	v_dual_add_f32 v60, v37, v71 :: v_dual_fmamk_f32 v37, v59, 0xbf737871, v27
	v_fmamk_f32 v39, v72, 0x3f737871, v31
	v_fmac_f32_e32 v31, 0xbf737871, v72
	v_dual_add_f32 v85, v121, v122 :: v_dual_fmac_f32 v26, 0xbf737871, v57
	v_fmac_f32_e32 v27, 0x3f737871, v59
	v_add_f32_e32 v83, v83, v155
	v_add_f32_e32 v61, v40, v42
	v_fmamk_f32 v40, v80, 0x3f737871, v32
	v_fmac_f32_e32 v32, 0xbf737871, v80
	v_fmamk_f32 v42, v82, 0xbf737871, v62
	v_dual_fmac_f32 v62, 0x3f737871, v82 :: v_dual_add_f32 v71, v41, v79
	v_dual_fmamk_f32 v41, v97, 0xbf737871, v33 :: v_dual_fmamk_f32 v46, v106, 0xbf737871, v24
	v_dual_fmamk_f32 v43, v98, 0x3f737871, v63 :: v_dual_add_f32 v86, v47, v87
	v_dual_fmac_f32 v63, 0xbf737871, v98 :: v_dual_add_f32 v56, v56, v65
	v_dual_fmac_f32 v33, 0x3f737871, v97 :: v_dual_fmac_f32 v24, 0x3f737871, v106
	v_dual_add_f32 v79, v45, v44 :: v_dual_fmac_f32 v36, 0x3f167918, v58
	v_fmamk_f32 v44, v105, 0x3f737871, v34
	v_dual_fmac_f32 v34, 0xbf737871, v105 :: v_dual_fmamk_f32 v45, v119, 0xbf737871, v35
	v_fmac_f32_e32 v35, 0x3f737871, v119
	v_fmamk_f32 v47, v120, 0x3f737871, v25
	v_fmac_f32_e32 v25, 0xbf737871, v120
	v_dual_fmac_f32 v30, 0xbf167918, v57 :: v_dual_fmac_f32 v37, 0xbf167918, v72
	v_dual_fmac_f32 v38, 0x3f167918, v57 :: v_dual_fmac_f32 v27, 0x3f167918, v72
	;; [unrolled: 1-line block ×4, first 2 shown]
	v_dual_fmac_f32 v26, 0xbf167918, v58 :: v_dual_add_f32 v57, v60, v73
	v_dual_add_f32 v77, v99, v100 :: v_dual_add_f32 v84, v112, v113
	v_dual_fmac_f32 v62, 0xbf167918, v80 :: v_dual_fmac_f32 v41, 0xbf167918, v98
	v_dual_fmac_f32 v42, 0x3f167918, v80 :: v_dual_add_f32 v59, v71, v81
	v_dual_fmac_f32 v43, 0xbf167918, v97 :: v_dual_fmac_f32 v34, 0xbf167918, v106
	v_dual_fmac_f32 v63, 0x3f167918, v97 :: v_dual_fmac_f32 v44, 0x3f167918, v106
	v_dual_add_f32 v58, v61, v67 :: v_dual_fmac_f32 v33, 0x3f167918, v98
	v_fmac_f32_e32 v46, 0x3f167918, v105
	v_add_f32_e32 v60, v79, v69
	v_dual_fmac_f32 v24, 0xbf167918, v105 :: v_dual_add_f32 v61, v86, v90
	v_fmac_f32_e32 v45, 0xbf167918, v120
	v_fmac_f32_e32 v35, 0x3f167918, v120
	;; [unrolled: 1-line block ×4, first 2 shown]
	v_dual_fmac_f32 v36, 0x3e9e377a, v157 :: v_dual_fmac_f32 v37, 0x3e9e377a, v68
	v_dual_fmac_f32 v38, 0x3e9e377a, v158 :: v_dual_fmac_f32 v41, 0x3e9e377a, v77
	;; [unrolled: 1-line block ×8, first 2 shown]
	global_wb scope:SCOPE_SE
	s_barrier_signal -1
	s_barrier_wait -1
	global_inv scope:SCOPE_SE
	v_dual_fmac_f32 v44, 0x3e9e377a, v78 :: v_dual_fmac_f32 v45, 0x3e9e377a, v85
	v_dual_fmac_f32 v34, 0x3e9e377a, v78 :: v_dual_fmac_f32 v35, 0x3e9e377a, v85
	;; [unrolled: 1-line block ×4, first 2 shown]
	ds_store_2addr_b64 v167, v[56:57], v[36:37] offset1:5
	ds_store_2addr_b64 v167, v[38:39], v[30:31] offset0:10 offset1:15
	ds_store_b64 v167, v[26:27] offset:160
	ds_store_2addr_b64 v169, v[58:59], v[40:41] offset1:5
	ds_store_2addr_b64 v169, v[42:43], v[62:63] offset0:10 offset1:15
	ds_store_b64 v169, v[32:33] offset:160
	;; [unrolled: 3-line block ×3, first 2 shown]
	v_add_co_u32 v30, s2, s10, v64
	v_lshlrev_b16 v29, 5, v55
	s_wait_alu 0xf1ff
	v_add_co_ci_u32_e64 v31, null, s11, 0, s2
	global_wb scope:SCOPE_SE
	s_wait_dscnt 0x0
	s_barrier_signal -1
	s_barrier_wait -1
	global_inv scope:SCOPE_SE
	s_clause 0x2
	global_load_b128 v[24:27], v28, s[10:11] offset:160
	global_load_b128 v[44:47], v28, s[10:11] offset:176
	global_load_b128 v[40:43], v[30:31], off offset:160
	v_and_b32_e32 v29, 0xffff, v29
	v_add_co_u32 v96, null, 0x2a3, v166
	v_add_co_u32 v104, null, 0x384, v166
	s_delay_alu instid0(VALU_DEP_3)
	v_add_co_u32 v28, s2, s10, v29
	s_wait_alu 0xf1ff
	v_add_co_ci_u32_e64 v29, null, s11, 0, s2
	s_clause 0x2
	global_load_b128 v[32:35], v[30:31], off offset:176
	global_load_b128 v[36:39], v[28:29], off offset:160
	;; [unrolled: 1-line block ×3, first 2 shown]
	ds_load_2addr_b64 v[80:83], v165 offset0:12 offset1:237
	v_and_b32_e32 v72, 0xffff, v96
	v_add_co_u32 v56, s2, 0xffffff83, v166
	v_and_b32_e32 v71, 0xffff, v104
	s_wait_alu 0xf1ff
	v_add_co_ci_u32_e64 v57, null, 0, -1, s2
	v_mul_u32_u24_e32 v58, 0x625, v72
	v_lshrrev_b32_e32 v60, 16, v49
	s_wait_alu 0xfffd
	v_cndmask_b32_e32 v68, v56, v166, vcc_lo
	v_cndmask_b32_e64 v69, v57, 0, vcc_lo
	v_lshrrev_b32_e32 v57, 16, v48
	v_lshrrev_b32_e32 v58, 16, v58
	v_sub_nc_u16 v49, v94, v60
	v_and_b32_e32 v54, 0xffff, v54
	s_delay_alu instid0(VALU_DEP_4) | instskip(NEXT) | instid1(VALU_DEP_4)
	v_sub_nc_u16 v48, v95, v57
	v_sub_nc_u16 v56, v96, v58
	s_delay_alu instid0(VALU_DEP_4) | instskip(NEXT) | instid1(VALU_DEP_4)
	v_lshrrev_b16 v63, 1, v49
	v_mul_u32_u24_e32 v54, 0x7d, v54
	s_delay_alu instid0(VALU_DEP_4) | instskip(NEXT) | instid1(VALU_DEP_4)
	v_lshrrev_b16 v62, 1, v48
	v_lshrrev_b16 v56, 1, v56
	s_delay_alu instid0(VALU_DEP_4)
	v_add_nc_u16 v60, v63, v60
	v_lshlrev_b64_e32 v[48:49], 4, v[68:69]
	v_add_lshl_u32 v170, v54, v51, 3
	v_add_nc_u16 v57, v62, v57
	v_add_nc_u16 v56, v56, v58
	v_lshrrev_b16 v69, 6, v60
	s_delay_alu instid0(VALU_DEP_3) | instskip(NEXT) | instid1(VALU_DEP_3)
	v_lshrrev_b16 v75, 6, v57
	v_lshrrev_b16 v73, 6, v56
	v_add_co_u32 v57, vcc_lo, s10, v48
	s_delay_alu instid0(VALU_DEP_3) | instskip(NEXT) | instid1(VALU_DEP_3)
	v_mul_lo_u16 v48, 0x7d, v75
	v_mul_lo_u16 v56, 0x7d, v73
	s_delay_alu instid0(VALU_DEP_2) | instskip(NEXT) | instid1(VALU_DEP_2)
	v_sub_nc_u16 v79, v95, v48
	v_sub_nc_u16 v77, v96, v56
	v_mad_u16 v48, 0x7d, v50, v53
	s_delay_alu instid0(VALU_DEP_3) | instskip(SKIP_1) | instid1(VALU_DEP_1)
	v_lshlrev_b16 v50, 4, v79
	s_wait_loadcnt_dscnt 0x400
	v_dual_mul_f32 v110, v81, v47 :: v_dual_and_b32 v67, 0xffff, v50
	s_wait_loadcnt 0x2
	v_mul_f32_e32 v122, v82, v35
	v_mul_u32_u24_e32 v59, 0x625, v71
	v_mul_f32_e32 v111, v80, v47
	v_mul_u32_u24_e32 v71, 0x5d87, v71
	s_delay_alu instid0(VALU_DEP_4) | instskip(NEXT) | instid1(VALU_DEP_4)
	v_fmac_f32_e32 v122, v83, v34
	v_lshrrev_b32_e32 v59, 16, v59
	s_delay_alu instid0(VALU_DEP_3) | instskip(NEXT) | instid1(VALU_DEP_2)
	v_lshrrev_b32_e32 v71, 16, v71
	v_sub_nc_u16 v61, v104, v59
	s_delay_alu instid0(VALU_DEP_1) | instskip(NEXT) | instid1(VALU_DEP_1)
	v_lshrrev_b16 v61, 1, v61
	v_add_nc_u16 v58, v61, v59
	ds_load_2addr_b64 v[61:64], v162 offset0:8 offset1:233
	v_and_b32_e32 v65, 0xffff, v48
	v_lshrrev_b16 v74, 6, v58
	s_wait_alu 0xfffd
	v_add_co_ci_u32_e32 v58, vcc_lo, s11, v49, vcc_lo
	v_mul_lo_u16 v49, 0x7d, v69
	v_cmp_gt_u16_e32 vcc_lo, 0x96, v88
	v_mul_lo_u16 v59, 0x7d, v74
	s_delay_alu instid0(VALU_DEP_3) | instskip(SKIP_2) | instid1(VALU_DEP_4)
	v_sub_nc_u16 v76, v94, v49
	v_mad_u16 v49, 0x7d, v52, v55
	v_lshlrev_b16 v52, 4, v77
	v_sub_nc_u16 v78, v104, v59
	s_delay_alu instid0(VALU_DEP_4) | instskip(NEXT) | instid1(VALU_DEP_3)
	v_lshlrev_b16 v51, 4, v76
	v_and_b32_e32 v56, 0xffff, v52
	ds_load_2addr_b64 v[52:55], v164 offset0:6 offset1:231
	v_and_b32_e32 v66, 0xffff, v49
	v_and_b32_e32 v93, 0xffff, v51
	ds_load_2addr_b64 v[48:51], v163 offset0:2 offset1:227
	ds_load_2addr_b64 v[84:87], v160 offset0:4 offset1:229
	ds_load_2addr_b64 v[89:92], v161 offset0:10 offset1:235
	v_lshlrev_b16 v59, 4, v78
	ds_load_2addr_b64 v[97:100], v159 offset1:225
	ds_load_b64 v[101:102], v159 offset:25200
	s_wait_loadcnt_dscnt 0x106
	v_dual_mul_f32 v156, v62, v39 :: v_dual_lshlrev_b32 v171, 3, v65
	v_mul_f32_e32 v106, v64, v45
	v_dual_mul_f32 v107, v63, v45 :: v_dual_and_b32 v60, 0xffff, v59
	global_wb scope:SCOPE_SE
	s_wait_loadcnt_dscnt 0x0
	s_barrier_signal -1
	s_barrier_wait -1
	global_inv scope:SCOPE_SE
	v_mul_f32_e32 v103, v53, v27
	v_mul_f32_e32 v114, v55, v43
	;; [unrolled: 1-line block ×6, first 2 shown]
	v_add_co_u32 v65, s2, s10, v67
	v_mul_f32_e32 v67, v50, v25
	v_fma_f32 v50, v50, v24, -v59
	v_fma_f32 v59, v63, v44, -v106
	v_mul_f32_e32 v120, v89, v33
	s_delay_alu instid0(VALU_DEP_4)
	v_dual_mul_f32 v174, v102, v31 :: v_dual_fmac_f32 v67, v51, v24
	v_fma_f32 v51, v52, v26, -v103
	v_fma_f32 v103, v80, v46, -v110
	;; [unrolled: 1-line block ×3, first 2 shown]
	v_mul_f32_e32 v115, v54, v43
	v_fma_f32 v54, v54, v42, -v114
	v_mul_f32_e32 v121, v83, v35
	v_dual_mul_f32 v173, v91, v29 :: v_dual_add_f32 v80, v50, v103
	s_delay_alu instid0(VALU_DEP_3)
	v_dual_fmac_f32 v111, v81, v46 :: v_dual_sub_f32 v176, v54, v52
	v_sub_f32_e32 v110, v50, v103
	v_mul_f32_e32 v119, v90, v33
	v_mul_f32_e32 v113, v84, v41
	v_fmac_f32_e32 v105, v53, v26
	v_dual_fmac_f32 v107, v64, v44 :: v_dual_sub_f32 v112, v51, v59
	v_dual_fmac_f32 v173, v92, v28 :: v_dual_sub_f32 v92, v67, v111
	v_fma_f32 v84, v89, v32, -v119
	v_mul_f32_e32 v157, v61, v39
	v_fma_f32 v61, v61, v38, -v156
	v_sub_f32_e32 v156, v52, v54
	v_fma_f32 v106, v82, v34, -v121
	v_mul_f32_e32 v175, v101, v31
	v_sub_f32_e32 v82, v59, v103
	v_mul_f32_e32 v123, v87, v37
	v_dual_mul_f32 v155, v86, v37 :: v_dual_sub_f32 v64, v103, v59
	v_fmac_f32_e32 v120, v90, v32
	v_fma_f32 v101, v101, v30, -v174
	v_add_f32_e32 v90, v67, v111
	v_add_f32_e32 v114, v99, v52
	;; [unrolled: 1-line block ×3, first 2 shown]
	v_dual_fmac_f32 v175, v102, v30 :: v_dual_sub_f32 v102, v105, v107
	v_fma_f32 v53, v86, v36, -v123
	v_fma_f32 v86, v91, v28, -v158
	v_sub_f32_e32 v158, v106, v84
	v_dual_fmac_f32 v157, v62, v38 :: v_dual_add_f32 v62, v51, v59
	v_fmac_f32_e32 v113, v85, v40
	v_fmac_f32_e32 v115, v55, v42
	v_dual_sub_f32 v63, v50, v51 :: v_dual_sub_f32 v190, v53, v61
	v_dual_fmac_f32 v155, v87, v36 :: v_dual_sub_f32 v180, v52, v106
	s_delay_alu instid0(VALU_DEP_4) | instskip(NEXT) | instid1(VALU_DEP_4)
	v_add_f32_e32 v178, v100, v113
	v_sub_f32_e32 v182, v113, v115
	v_dual_add_f32 v184, v113, v122 :: v_dual_add_f32 v83, v98, v67
	v_dual_add_f32 v196, v157, v173 :: v_dual_sub_f32 v81, v51, v50
	v_add_f32_e32 v192, v53, v101
	v_dual_sub_f32 v121, v113, v122 :: v_dual_add_f32 v204, v63, v64
	s_delay_alu instid0(VALU_DEP_4)
	v_dual_sub_f32 v177, v84, v106 :: v_dual_add_f32 v64, v83, v105
	v_fma_f32 v52, -0.5, v80, v97
	v_dual_add_f32 v85, v105, v107 :: v_dual_sub_f32 v194, v86, v101
	v_dual_sub_f32 v87, v67, v105 :: v_dual_sub_f32 v198, v61, v86
	v_sub_f32_e32 v89, v111, v107
	v_sub_f32_e32 v91, v107, v111
	v_dual_sub_f32 v181, v54, v84 :: v_dual_add_f32 v186, v48, v53
	v_dual_add_f32 v55, v97, v50 :: v_dual_sub_f32 v188, v155, v175
	v_dual_sub_f32 v67, v105, v67 :: v_dual_sub_f32 v200, v175, v173
	v_dual_add_f32 v119, v54, v84 :: v_dual_sub_f32 v202, v173, v175
	v_dual_add_f32 v187, v61, v86 :: v_dual_fmamk_f32 v80, v102, 0xbf737871, v52
	v_add_f32_e32 v205, v81, v82
	v_fma_f32 v50, -0.5, v62, v97
	v_add_f32_e32 v82, v114, v54
	v_dual_fmac_f32 v52, 0x3f737871, v102 :: v_dual_add_f32 v97, v64, v107
	v_sub_f32_e32 v185, v120, v122
	v_sub_f32_e32 v191, v101, v86
	v_dual_add_f32 v114, v156, v158 :: v_dual_add_f32 v67, v67, v91
	v_fmac_f32_e32 v80, 0x3f167918, v92
	v_fma_f32 v54, -0.5, v119, v99
	v_fma_f32 v99, -0.5, v174, v99
	v_sub_f32_e32 v193, v61, v53
	v_dual_add_f32 v119, v176, v177 :: v_dual_fmac_f32 v52, 0xbf167918, v92
	v_fma_f32 v62, -0.5, v196, v49
	v_fmamk_f32 v63, v92, 0x3f737871, v50
	v_dual_fmac_f32 v50, 0xbf737871, v92 :: v_dual_add_f32 v105, v87, v89
	v_dual_add_f32 v87, v186, v61 :: v_dual_add_f32 v92, v97, v111
	v_sub_f32_e32 v197, v53, v101
	v_add_f32_e32 v203, v55, v51
	v_fma_f32 v51, -0.5, v85, v98
	v_fma_f32 v53, -0.5, v90, v98
	v_add_f32_e32 v98, v82, v84
	v_dual_sub_f32 v123, v115, v120 :: v_dual_add_f32 v156, v190, v191
	v_sub_f32_e32 v113, v115, v113
	v_dual_sub_f32 v189, v157, v173 :: v_dual_fmamk_f32 v64, v110, 0xbf737871, v51
	s_delay_alu instid0(VALU_DEP_3) | instskip(SKIP_2) | instid1(VALU_DEP_4)
	v_fmamk_f32 v84, v123, 0xbf737871, v99
	v_dual_add_f32 v179, v115, v120 :: v_dual_add_f32 v158, v193, v194
	v_add_f32_e32 v195, v49, v155
	v_dual_add_f32 v83, v178, v115 :: v_dual_fmac_f32 v64, 0xbf167918, v112
	s_delay_alu instid0(VALU_DEP_3)
	v_fma_f32 v55, -0.5, v179, v100
	v_dual_fmac_f32 v100, -0.5, v184 :: v_dual_add_f32 v201, v155, v175
	v_dual_sub_f32 v183, v122, v120 :: v_dual_fmamk_f32 v82, v121, 0x3f737871, v54
	v_fma_f32 v61, -0.5, v187, v48
	v_fma_f32 v48, -0.5, v192, v48
	v_fmac_f32_e32 v54, 0xbf737871, v121
	v_add_f32_e32 v89, v195, v157
	v_add_f32_e32 v107, v83, v120
	v_fmamk_f32 v85, v181, 0x3f737871, v100
	v_fmac_f32_e32 v100, 0xbf737871, v181
	v_fmac_f32_e32 v49, -0.5, v201
	v_fmamk_f32 v81, v112, 0x3f737871, v53
	v_fmac_f32_e32 v53, 0xbf737871, v112
	v_fmac_f32_e32 v51, 0x3f737871, v110
	v_fmamk_f32 v83, v180, 0xbf737871, v55
	v_sub_f32_e32 v199, v155, v157
	v_sub_f32_e32 v155, v157, v155
	v_fmac_f32_e32 v99, 0x3f737871, v123
	v_fmac_f32_e32 v55, 0x3f737871, v180
	;; [unrolled: 1-line block ×3, first 2 shown]
	v_dual_add_f32 v97, v98, v106 :: v_dual_fmac_f32 v54, 0xbf167918, v123
	v_add_f32_e32 v173, v89, v173
	v_fmamk_f32 v89, v189, 0xbf737871, v48
	v_fmac_f32_e32 v48, 0x3f737871, v189
	v_add_f32_e32 v98, v107, v122
	v_fmamk_f32 v90, v198, 0x3f737871, v49
	v_fmac_f32_e32 v49, 0xbf737871, v198
	;; [unrolled: 3-line block ×3, first 2 shown]
	v_fmamk_f32 v87, v197, 0xbf737871, v62
	v_dual_fmac_f32 v62, 0x3f737871, v197 :: v_dual_add_f32 v59, v203, v59
	v_fmac_f32_e32 v48, 0xbf167918, v188
	v_fmac_f32_e32 v63, 0x3f167918, v102
	v_fmac_f32_e32 v81, 0xbf167918, v110
	v_fmac_f32_e32 v53, 0x3f167918, v110
	v_fmac_f32_e32 v51, 0x3f167918, v112
	v_dual_add_f32 v115, v182, v183 :: v_dual_fmac_f32 v84, 0x3f167918, v121
	v_dual_add_f32 v113, v113, v185 :: v_dual_fmac_f32 v82, 0x3f167918, v123
	v_fmac_f32_e32 v83, 0xbf167918, v181
	v_dual_add_f32 v155, v155, v202 :: v_dual_fmac_f32 v100, 0x3f167918, v180
	v_fmac_f32_e32 v99, 0xbf167918, v121
	v_fmac_f32_e32 v55, 0x3f167918, v181
	;; [unrolled: 1-line block ×3, first 2 shown]
	v_dual_fmac_f32 v49, 0x3f167918, v197 :: v_dual_lshlrev_b32 v172, 3, v66
	s_wait_alu 0xf1ff
	v_add_co_ci_u32_e64 v66, null, s11, 0, s2
	v_dual_add_f32 v157, v199, v200 :: v_dual_fmac_f32 v86, 0x3f167918, v189
	v_dual_add_f32 v91, v59, v103 :: v_dual_fmac_f32 v80, 0x3e9e377a, v205
	v_fmac_f32_e32 v61, 0xbf167918, v189
	v_fmac_f32_e32 v89, 0x3f167918, v188
	;; [unrolled: 1-line block ×5, first 2 shown]
	v_dual_fmac_f32 v63, 0x3e9e377a, v204 :: v_dual_fmac_f32 v64, 0x3e9e377a, v105
	v_dual_fmac_f32 v52, 0x3e9e377a, v205 :: v_dual_fmac_f32 v81, 0x3e9e377a, v67
	;; [unrolled: 1-line block ×3, first 2 shown]
	v_fmac_f32_e32 v86, 0x3e9e377a, v156
	v_dual_fmac_f32 v50, 0x3e9e377a, v204 :: v_dual_fmac_f32 v51, 0x3e9e377a, v105
	v_dual_fmac_f32 v54, 0x3e9e377a, v114 :: v_dual_add_f32 v101, v120, v101
	v_dual_fmac_f32 v82, 0x3e9e377a, v114 :: v_dual_fmac_f32 v83, 0x3e9e377a, v115
	v_fmac_f32_e32 v62, 0x3e9e377a, v157
	v_dual_fmac_f32 v84, 0x3e9e377a, v119 :: v_dual_fmac_f32 v85, 0x3e9e377a, v113
	v_dual_fmac_f32 v99, 0x3e9e377a, v119 :: v_dual_fmac_f32 v48, 0x3e9e377a, v158
	v_fmac_f32_e32 v55, 0x3e9e377a, v115
	v_fmac_f32_e32 v49, 0x3e9e377a, v155
	v_dual_add_f32 v102, v173, v175 :: v_dual_fmac_f32 v61, 0x3e9e377a, v156
	v_dual_fmac_f32 v90, 0x3e9e377a, v155 :: v_dual_fmac_f32 v89, 0x3e9e377a, v158
	v_fmac_f32_e32 v87, 0x3e9e377a, v157
	ds_store_2addr_b64 v170, v[91:92], v[63:64] offset1:25
	ds_store_2addr_b64 v170, v[80:81], v[52:53] offset0:50 offset1:75
	ds_store_b64 v170, v[50:51] offset:800
	ds_store_2addr_b64 v171, v[97:98], v[82:83] offset1:25
	ds_store_2addr_b64 v171, v[84:85], v[99:100] offset0:50 offset1:75
	ds_store_b64 v171, v[54:55] offset:800
	;; [unrolled: 3-line block ×3, first 2 shown]
	global_wb scope:SCOPE_SE
	s_wait_dscnt 0x0
	s_barrier_signal -1
	s_barrier_wait -1
	global_inv scope:SCOPE_SE
	s_clause 0x1
	global_load_b128 v[48:51], v[57:58], off offset:960
	global_load_b128 v[52:55], v[65:66], off offset:960
	v_add_co_u32 v57, s2, s10, v93
	s_wait_alu 0xf1ff
	v_add_co_ci_u32_e64 v58, null, s11, 0, s2
	v_add_co_u32 v61, s2, s10, v56
	s_wait_alu 0xf1ff
	v_add_co_ci_u32_e64 v62, null, s11, 0, s2
	;; [unrolled: 3-line block ×3, first 2 shown]
	s_clause 0x2
	global_load_b128 v[56:59], v[57:58], off offset:960
	global_load_b128 v[60:63], v[61:62], off offset:960
	;; [unrolled: 1-line block ×3, first 2 shown]
	v_mul_u32_u24_e32 v72, 0x5d87, v72
	v_sub_nc_u16 v81, v104, v71
	v_add_co_u32 v82, s2, 0xffffff6a, v166
	s_wait_alu 0xf1ff
	v_add_co_ci_u32_e64 v83, null, 0, -1, s2
	v_lshrrev_b32_e32 v72, 16, v72
	v_lshrrev_b16 v81, 1, v81
	s_wait_alu 0xfffd
	s_delay_alu instid0(VALU_DEP_3) | instskip(SKIP_3) | instid1(VALU_DEP_2)
	v_dual_cndmask_b32 v92, v82, v95 :: v_dual_cndmask_b32 v93, v83, v70
	v_cmp_lt_u16_e32 vcc_lo, 0x7c, v88
	v_sub_nc_u16 v80, v96, v72
	v_add_nc_u16 v71, v81, v71
	v_lshrrev_b16 v80, 1, v80
	s_delay_alu instid0(VALU_DEP_1) | instskip(SKIP_3) | instid1(VALU_DEP_3)
	v_add_nc_u16 v70, v80, v72
	s_wait_alu 0xfffd
	v_cndmask_b32_e64 v72, 0, 0x177, vcc_lo
	v_lshrrev_b16 v80, 8, v71
	v_lshrrev_b16 v98, 8, v70
	s_delay_alu instid0(VALU_DEP_3) | instskip(NEXT) | instid1(VALU_DEP_3)
	v_add_lshl_u32 v173, v68, v72, 3
	v_mul_lo_u16 v72, 0x177, v80
	v_mad_u16 v80, 0x177, v74, v78
	s_delay_alu instid0(VALU_DEP_4) | instskip(NEXT) | instid1(VALU_DEP_3)
	v_mul_lo_u16 v68, 0x177, v98
	v_sub_nc_u16 v97, v104, v72
	v_mad_u16 v72, 0x177, v69, v76
	v_mad_u16 v76, 0x177, v73, v77
	s_delay_alu instid0(VALU_DEP_4)
	v_sub_nc_u16 v103, v96, v68
	v_mad_u16 v68, 0x177, v75, v79
	v_and_b32_e32 v85, 0xffff, v80
	v_and_b32_e32 v83, 0xffff, v72
	ds_load_2addr_b64 v[72:75], v161 offset0:10 offset1:235
	v_lshlrev_b16 v81, 4, v103
	v_and_b32_e32 v82, 0xffff, v68
	v_lshlrev_b64_e32 v[70:71], 4, v[92:93]
	v_lshlrev_b32_e32 v176, 3, v83
	v_lshlrev_b32_e32 v175, 3, v85
	v_lshlrev_b16 v91, 4, v97
	v_and_b32_e32 v97, 0xffff, v97
	v_mad_u16 v103, 0x465, v98, v103
	v_add_co_u32 v89, vcc_lo, s10, v70
	s_wait_alu 0xfffd
	v_add_co_ci_u32_e32 v90, vcc_lo, s11, v71, vcc_lo
	ds_load_2addr_b64 v[68:71], v160 offset0:4 offset1:229
	v_and_b32_e32 v84, 0xffff, v76
	ds_load_2addr_b64 v[76:79], v164 offset0:6 offset1:231
	v_and_b32_e32 v107, 0xffff, v81
	v_cmp_lt_u16_e32 vcc_lo, 0x95, v88
	s_wait_loadcnt_dscnt 0x401
	v_dual_mul_f32 v115, v70, v49 :: v_dual_lshlrev_b32 v104, 4, v104
	s_wait_loadcnt 0x3
	v_mul_f32_e32 v123, v75, v55
	v_dual_mul_f32 v155, v74, v55 :: v_dual_lshlrev_b32 v174, 3, v84
	v_mul_f32_e32 v114, v71, v49
	v_fmac_f32_e32 v115, v71, v48
	s_delay_alu instid0(VALU_DEP_4) | instskip(SKIP_4) | instid1(VALU_DEP_3)
	v_fma_f32 v74, v74, v54, -v123
	s_wait_dscnt 0x0
	v_dual_mul_f32 v119, v73, v51 :: v_dual_mul_f32 v122, v76, v53
	v_dual_mul_f32 v120, v72, v51 :: v_dual_fmac_f32 v155, v75, v54
	v_fma_f32 v70, v70, v48, -v114
	v_fma_f32 v71, v72, v50, -v119
	v_lshlrev_b32_e32 v177, 3, v82
	ds_load_2addr_b64 v[80:83], v165 offset0:12 offset1:237
	ds_load_2addr_b64 v[84:87], v162 offset0:8 offset1:233
	ds_load_2addr_b64 v[99:102], v159 offset1:225
	ds_load_2addr_b64 v[110:113], v163 offset0:2 offset1:227
	ds_load_b64 v[105:106], v159 offset:25200
	v_fmac_f32_e32 v122, v77, v52
	v_fmac_f32_e32 v120, v73, v50
	s_wait_loadcnt 0x2
	v_mul_f32_e32 v156, v79, v57
	global_wb scope:SCOPE_SE
	s_wait_loadcnt_dscnt 0x0
	s_barrier_signal -1
	v_dual_add_f32 v114, v122, v155 :: v_dual_mul_f32 v121, v77, v53
	v_fma_f32 v73, v78, v56, -v156
	s_barrier_wait -1
	global_inv scope:SCOPE_SE
	v_mul_f32_e32 v180, v84, v61
	v_mul_f32_e32 v184, v86, v65
	;; [unrolled: 1-line block ×4, first 2 shown]
	s_delay_alu instid0(VALU_DEP_4) | instskip(SKIP_2) | instid1(VALU_DEP_4)
	v_dual_mul_f32 v185, v106, v67 :: v_dual_fmac_f32 v180, v85, v60
	v_mul_f32_e32 v178, v80, v59
	v_mul_f32_e32 v182, v82, v63
	v_fmac_f32_e32 v186, v106, v66
	v_add_f32_e32 v106, v102, v122
	v_dual_fmac_f32 v102, -0.5, v114 :: v_dual_mul_f32 v179, v85, v61
	v_sub_f32_e32 v85, v115, v120
	v_mul_f32_e32 v181, v83, v63
	v_fma_f32 v72, v76, v52, -v121
	v_fma_f32 v76, v80, v58, -v158
	v_fmac_f32_e32 v182, v83, v62
	v_fmac_f32_e32 v184, v87, v64
	v_fma_f32 v80, v82, v62, -v181
	v_fma_f32 v82, v105, v66, -v185
	v_sub_f32_e32 v105, v122, v155
	v_dual_mul_f32 v183, v87, v65 :: v_dual_fmac_f32 v178, v81, v58
	v_fma_f32 v75, v84, v60, -v179
	v_add_f32_e32 v121, v73, v76
	v_sub_f32_e32 v181, v180, v182
	s_delay_alu instid0(VALU_DEP_4) | instskip(SKIP_3) | instid1(VALU_DEP_4)
	v_fma_f32 v77, v86, v64, -v183
	v_dual_add_f32 v183, v113, v180 :: v_dual_add_f32 v180, v180, v182
	v_sub_f32_e32 v189, v184, v186
	v_add_f32_e32 v83, v115, v120
	v_add_f32_e32 v187, v68, v77
	v_dual_mul_f32 v157, v78, v57 :: v_dual_add_f32 v188, v77, v82
	v_add_f32_e32 v78, v99, v70
	v_sub_f32_e32 v191, v77, v82
	s_delay_alu instid0(VALU_DEP_4)
	v_add_f32_e32 v82, v187, v82
	v_sub_f32_e32 v86, v70, v71
	v_fma_f32 v68, -0.5, v188, v68
	v_fmac_f32_e32 v157, v79, v56
	v_add_f32_e32 v119, v110, v73
	v_sub_f32_e32 v185, v75, v80
	v_fmac_f32_e32 v113, -0.5, v180
	v_add_f32_e32 v79, v70, v71
	v_add_f32_e32 v70, v78, v71
	v_fma_f32 v78, -0.5, v121, v110
	v_fmamk_f32 v110, v189, 0x3f5db3d7, v68
	v_add_f32_e32 v156, v157, v178
	v_add_f32_e32 v87, v72, v74
	v_add_f32_e32 v123, v111, v157
	v_add_f32_e32 v179, v75, v80
	v_add_f32_e32 v190, v69, v184
	v_add_f32_e32 v184, v184, v186
	v_dual_add_f32 v81, v100, v115 :: v_dual_fmac_f32 v68, 0xbf5db3d7, v189
	v_dual_add_f32 v84, v101, v72 :: v_dual_sub_f32 v115, v72, v74
	v_sub_f32_e32 v122, v157, v178
	v_sub_f32_e32 v157, v73, v76
	v_fma_f32 v72, -0.5, v79, v99
	v_fma_f32 v73, -0.5, v83, v100
	;; [unrolled: 1-line block ×3, first 2 shown]
	v_dual_add_f32 v158, v112, v75 :: v_dual_lshlrev_b32 v93, 4, v166
	v_add_f32_e32 v77, v123, v178
	v_fma_f32 v112, -0.5, v179, v112
	v_lshlrev_b32_e32 v178, 3, v97
	v_fma_f32 v101, -0.5, v87, v101
	v_fmac_f32_e32 v69, -0.5, v184
	v_dual_add_f32 v71, v81, v120 :: v_dual_add_f32 v74, v84, v74
	v_fmamk_f32 v100, v157, 0xbf5db3d7, v79
	v_fmamk_f32 v84, v85, 0x3f5db3d7, v72
	v_dual_fmac_f32 v72, 0xbf5db3d7, v85 :: v_dual_fmamk_f32 v85, v86, 0xbf5db3d7, v73
	v_fmac_f32_e32 v73, 0x3f5db3d7, v86
	v_fmamk_f32 v86, v105, 0x3f5db3d7, v101
	v_fmac_f32_e32 v101, 0xbf5db3d7, v105
	v_fmamk_f32 v87, v115, 0xbf5db3d7, v102
	v_fmamk_f32 v105, v181, 0x3f5db3d7, v112
	v_dual_fmac_f32 v112, 0xbf5db3d7, v181 :: v_dual_add_f32 v75, v106, v155
	v_fmac_f32_e32 v102, 0x3f5db3d7, v115
	v_dual_add_f32 v76, v119, v76 :: v_dual_fmamk_f32 v99, v122, 0x3f5db3d7, v78
	v_fmac_f32_e32 v78, 0xbf5db3d7, v122
	v_fmac_f32_e32 v79, 0x3f5db3d7, v157
	v_fmamk_f32 v111, v191, 0xbf5db3d7, v69
	v_dual_fmac_f32 v69, 0x3f5db3d7, v191 :: v_dual_add_f32 v80, v158, v80
	v_add_f32_e32 v81, v183, v182
	v_dual_add_f32 v83, v190, v186 :: v_dual_fmamk_f32 v106, v185, 0xbf5db3d7, v113
	v_fmac_f32_e32 v113, 0x3f5db3d7, v185
	ds_store_2addr_b64 v173, v[70:71], v[84:85] offset1:125
	ds_store_b64 v173, v[72:73] offset:2000
	ds_store_2addr_b64 v177, v[74:75], v[86:87] offset1:125
	ds_store_b64 v177, v[101:102] offset:2000
	;; [unrolled: 2-line block ×5, first 2 shown]
	global_wb scope:SCOPE_SE
	s_wait_dscnt 0x0
	s_barrier_signal -1
	s_barrier_wait -1
	global_inv scope:SCOPE_SE
	s_clause 0x1
	global_load_b128 v[68:71], v93, s[10:11] offset:2960
	global_load_b128 v[76:79], v93, s[10:11] offset:4160
	v_and_b32_e32 v74, 0xffff, v91
	v_add_co_u32 v72, s2, s10, v107
	global_load_b128 v[84:87], v[89:90], off offset:2960
	s_wait_alu 0xf1ff
	v_add_co_ci_u32_e64 v73, null, s11, 0, s2
	v_add_co_u32 v74, s2, s10, v74
	s_wait_alu 0xf1ff
	v_add_co_ci_u32_e64 v75, null, s11, 0, s2
	s_clause 0x1
	global_load_b128 v[80:83], v[72:73], off offset:2960
	global_load_b128 v[72:75], v[74:75], off offset:2960
	ds_load_2addr_b64 v[119:122], v165 offset0:12 offset1:237
	ds_load_2addr_b64 v[98:101], v161 offset0:10 offset1:235
	;; [unrolled: 1-line block ×4, first 2 shown]
	s_wait_alu 0xfffd
	v_cndmask_b32_e64 v102, 0, 0x465, vcc_lo
	s_add_nc_u64 s[2:3], s[8:9], 0x6978
	s_delay_alu instid0(VALU_DEP_1)
	v_add_lshl_u32 v180, v92, v102, 3
	s_wait_loadcnt_dscnt 0x402
	v_mul_f32_e32 v106, v98, v71
	s_wait_loadcnt 0x3
	v_mul_f32_e32 v192, v119, v79
	s_wait_dscnt 0x0
	v_mul_f32_e32 v92, v91, v69
	v_mul_f32_e32 v190, v112, v77
	s_wait_loadcnt 0x2
	v_mul_f32_e32 v114, v110, v85
	v_dual_fmac_f32 v192, v120, v78 :: v_dual_and_b32 v103, 0xffff, v103
	v_mul_f32_e32 v115, v101, v87
	v_dual_mul_f32 v123, v100, v87 :: v_dual_fmac_f32 v106, v99, v70
	s_delay_alu instid0(VALU_DEP_3)
	v_dual_fmac_f32 v114, v111, v84 :: v_dual_lshlrev_b32 v179, 3, v103
	ds_load_2addr_b64 v[155:158], v162 offset0:8 offset1:233
	ds_load_2addr_b64 v[181:184], v159 offset1:225
	ds_load_b64 v[102:103], v159 offset:25200
	ds_load_2addr_b64 v[185:188], v163 offset0:2 offset1:227
	v_mul_f32_e32 v107, v111, v85
	v_mul_f32_e32 v105, v99, v71
	s_wait_loadcnt 0x1
	v_mul_f32_e32 v195, v122, v83
	v_mul_f32_e32 v196, v121, v83
	v_fma_f32 v99, v100, v86, -v115
	v_fmac_f32_e32 v123, v101, v86
	v_fma_f32 v100, v110, v84, -v107
	v_fma_f32 v107, v121, v82, -v195
	v_fmac_f32_e32 v196, v122, v82
	v_fmac_f32_e32 v190, v113, v76
	global_wb scope:SCOPE_SE
	s_wait_loadcnt_dscnt 0x0
	v_sub_f32_e32 v122, v100, v99
	v_mul_f32_e32 v191, v120, v79
	v_sub_f32_e32 v120, v114, v123
	s_barrier_signal -1
	s_barrier_wait -1
	v_dual_mul_f32 v198, v157, v73 :: v_dual_add_f32 v121, v184, v114
	v_mul_f32_e32 v97, v90, v69
	v_mul_f32_e32 v199, v103, v75
	;; [unrolled: 1-line block ×3, first 2 shown]
	v_fma_f32 v90, v90, v68, -v92
	v_dual_add_f32 v114, v114, v123 :: v_dual_mul_f32 v193, v156, v81
	v_fmac_f32_e32 v198, v158, v72
	v_fma_f32 v110, v102, v74, -v199
	v_fmac_f32_e32 v200, v103, v74
	v_add_f32_e32 v102, v181, v90
	v_fmac_f32_e32 v184, -0.5, v114
	v_fma_f32 v98, v98, v70, -v105
	v_fma_f32 v105, v119, v78, -v191
	v_dual_sub_f32 v199, v198, v200 :: v_dual_mul_f32 v194, v155, v81
	global_inv scope:SCOPE_SE
	v_add_f32_e32 v103, v90, v98
	v_sub_f32_e32 v119, v90, v98
	v_add_f32_e32 v90, v102, v98
	v_dual_add_f32 v98, v121, v123 :: v_dual_fmac_f32 v97, v91, v68
	v_fma_f32 v91, v155, v80, -v193
	v_fmac_f32_e32 v194, v156, v80
	v_sub_f32_e32 v155, v190, v192
	s_delay_alu instid0(VALU_DEP_4)
	v_dual_add_f32 v156, v190, v192 :: v_dual_sub_f32 v115, v97, v106
	v_mul_f32_e32 v189, v113, v77
	v_sub_f32_e32 v195, v91, v107
	v_mul_f32_e32 v197, v158, v73
	v_add_f32_e32 v111, v182, v97
	v_add_f32_e32 v113, v100, v99
	v_fma_f32 v101, v112, v76, -v189
	v_add_f32_e32 v112, v97, v106
	v_fma_f32 v92, v157, v72, -v197
	v_add_f32_e32 v97, v183, v100
	v_add_f32_e32 v197, v89, v198
	v_dual_add_f32 v157, v185, v101 :: v_dual_add_f32 v198, v198, v200
	s_delay_alu instid0(VALU_DEP_4)
	v_add_f32_e32 v201, v88, v92
	v_add_f32_e32 v202, v92, v110
	;; [unrolled: 1-line block ×4, first 2 shown]
	v_sub_f32_e32 v189, v101, v105
	v_dual_add_f32 v101, v188, v194 :: v_dual_sub_f32 v190, v194, v196
	v_dual_add_f32 v191, v194, v196 :: v_dual_add_f32 v194, v91, v107
	v_dual_add_f32 v193, v187, v91 :: v_dual_sub_f32 v92, v92, v110
	v_add_f32_e32 v91, v111, v106
	v_add_f32_e32 v97, v97, v99
	;; [unrolled: 1-line block ×4, first 2 shown]
	v_fma_f32 v110, -0.5, v103, v181
	v_fma_f32 v111, -0.5, v112, v182
	;; [unrolled: 1-line block ×4, first 2 shown]
	v_fmac_f32_e32 v89, -0.5, v198
	v_dual_add_f32 v102, v101, v196 :: v_dual_lshlrev_b32 v95, 4, v95
	v_fma_f32 v112, -0.5, v158, v185
	v_fma_f32 v113, -0.5, v156, v186
	;; [unrolled: 1-line block ×3, first 2 shown]
	v_fmac_f32_e32 v188, -0.5, v191
	v_fmamk_f32 v114, v115, 0x3f5db3d7, v110
	v_dual_fmac_f32 v110, 0xbf5db3d7, v115 :: v_dual_fmamk_f32 v115, v119, 0xbf5db3d7, v111
	v_dual_fmac_f32 v111, 0x3f5db3d7, v119 :: v_dual_add_f32 v100, v100, v192
	v_add_f32_e32 v101, v193, v107
	v_fmamk_f32 v119, v120, 0x3f5db3d7, v183
	v_dual_fmac_f32 v183, 0xbf5db3d7, v120 :: v_dual_fmamk_f32 v120, v122, 0xbf5db3d7, v184
	v_fmamk_f32 v157, v199, 0x3f5db3d7, v88
	v_fmac_f32_e32 v88, 0xbf5db3d7, v199
	v_fmamk_f32 v158, v92, 0xbf5db3d7, v89
	v_fmac_f32_e32 v89, 0x3f5db3d7, v92
	v_add_f32_e32 v106, v197, v200
	v_fmac_f32_e32 v184, 0x3f5db3d7, v122
	v_fmamk_f32 v121, v155, 0x3f5db3d7, v112
	v_fmac_f32_e32 v112, 0xbf5db3d7, v155
	v_fmamk_f32 v122, v189, 0xbf5db3d7, v113
	v_fmac_f32_e32 v113, 0x3f5db3d7, v189
	v_fmamk_f32 v155, v190, 0x3f5db3d7, v187
	v_dual_fmac_f32 v187, 0xbf5db3d7, v190 :: v_dual_fmamk_f32 v156, v195, 0xbf5db3d7, v188
	v_fmac_f32_e32 v188, 0x3f5db3d7, v195
	ds_store_b64 v159, v[90:91]
	ds_store_b64 v159, v[114:115] offset:3000
	ds_store_b64 v159, v[110:111] offset:6000
	ds_store_b64 v180, v[97:98]
	ds_store_b64 v180, v[119:120] offset:3000
	ds_store_b64 v180, v[183:184] offset:6000
	;; [unrolled: 1-line block ×5, first 2 shown]
	ds_store_b64 v179, v[101:102]
	ds_store_b64 v179, v[155:156] offset:3000
	ds_store_b64 v179, v[187:188] offset:6000
	;; [unrolled: 1-line block ×5, first 2 shown]
	global_wb scope:SCOPE_SE
	s_wait_dscnt 0x0
	s_barrier_signal -1
	s_barrier_wait -1
	global_inv scope:SCOPE_SE
	s_clause 0x1
	global_load_b128 v[88:91], v93, s[10:11] offset:8960
	global_load_b128 v[100:103], v95, s[10:11] offset:8960
	v_lshlrev_b32_e32 v92, 4, v94
	v_lshlrev_b32_e32 v93, 4, v96
	s_clause 0x2
	global_load_b128 v[96:99], v92, s[10:11] offset:8960
	global_load_b128 v[92:95], v93, s[10:11] offset:8960
	;; [unrolled: 1-line block ×3, first 2 shown]
	ds_load_2addr_b64 v[110:113], v160 offset0:4 offset1:229
	ds_load_2addr_b64 v[119:122], v161 offset0:10 offset1:235
	;; [unrolled: 1-line block ×4, first 2 shown]
	ds_load_2addr_b64 v[186:189], v159 offset1:225
	ds_load_2addr_b64 v[190:193], v163 offset0:2 offset1:227
	ds_load_2addr_b64 v[194:197], v162 offset0:8 offset1:233
	ds_load_b64 v[114:115], v159 offset:25200
	s_wait_loadcnt_dscnt 0x407
	v_mul_f32_e32 v198, v112, v89
	s_wait_dscnt 0x6
	v_mul_f32_e32 v199, v120, v91
	v_mul_f32_e32 v200, v119, v91
	s_wait_loadcnt_dscnt 0x305
	v_dual_mul_f32 v203, v121, v103 :: v_dual_mul_f32 v204, v155, v101
	v_mul_f32_e32 v202, v122, v103
	s_wait_loadcnt 0x2
	v_mul_f32_e32 v206, v157, v97
	s_wait_loadcnt_dscnt 0x104
	v_mul_f32_e32 v210, v184, v95
	v_fma_f32 v119, v119, v90, -v199
	v_fmac_f32_e32 v200, v120, v90
	v_fmac_f32_e32 v203, v122, v102
	s_wait_dscnt 0x1
	v_mul_f32_e32 v122, v194, v93
	s_wait_loadcnt 0x0
	v_dual_mul_f32 v199, v197, v105 :: v_dual_fmac_f32 v204, v156, v100
	v_dual_fmac_f32 v198, v113, v88 :: v_dual_mul_f32 v205, v158, v97
	v_mul_f32_e32 v209, v185, v95
	v_fma_f32 v120, v121, v102, -v202
	v_mul_f32_e32 v202, v196, v105
	v_fmac_f32_e32 v206, v158, v96
	v_fmac_f32_e32 v210, v185, v94
	;; [unrolled: 1-line block ×3, first 2 shown]
	v_fma_f32 v158, v196, v104, -v199
	v_mul_f32_e32 v123, v113, v89
	v_sub_f32_e32 v185, v198, v200
	v_mul_f32_e32 v201, v156, v101
	v_sub_f32_e32 v196, v204, v203
	v_mul_f32_e32 v207, v183, v99
	v_mul_f32_e32 v208, v182, v99
	v_fma_f32 v156, v157, v96, -v205
	v_fma_f32 v155, v155, v100, -v201
	;; [unrolled: 1-line block ×5, first 2 shown]
	v_sub_f32_e32 v209, v122, v210
	s_wait_dscnt 0x0
	v_mul_f32_e32 v157, v115, v107
	v_dual_mul_f32 v201, v114, v107 :: v_dual_fmac_f32 v208, v183, v98
	v_add_f32_e32 v183, v198, v200
	v_sub_f32_e32 v199, v155, v120
	s_delay_alu instid0(VALU_DEP_4) | instskip(NEXT) | instid1(VALU_DEP_4)
	v_fma_f32 v184, v114, v106, -v157
	v_fmac_f32_e32 v201, v115, v106
	v_dual_add_f32 v114, v187, v198 :: v_dual_add_f32 v115, v188, v155
	v_dual_add_f32 v198, v155, v120 :: v_dual_add_f32 v155, v156, v123
	v_fmac_f32_e32 v202, v197, v104
	v_add_f32_e32 v113, v186, v112
	v_add_f32_e32 v197, v204, v203
	v_sub_f32_e32 v205, v206, v208
	v_dual_sub_f32 v207, v156, v123 :: v_dual_add_f32 v156, v190, v156
	v_fma_f32 v155, -0.5, v155, v190
	v_mul_f32_e32 v121, v195, v93
	v_add_f32_e32 v195, v189, v204
	v_dual_add_f32 v204, v206, v208 :: v_dual_add_f32 v157, v112, v119
	v_dual_add_f32 v190, v158, v184 :: v_dual_add_nc_u32 v181, 0x4d00, v159
	s_delay_alu instid0(VALU_DEP_4)
	v_fma_f32 v121, v194, v92, -v121
	v_sub_f32_e32 v194, v112, v119
	v_add_f32_e32 v112, v113, v119
	v_add_f32_e32 v119, v156, v123
	v_fma_f32 v156, -0.5, v204, v191
	v_dual_add_f32 v206, v191, v206 :: v_dual_add_f32 v113, v114, v200
	v_add_f32_e32 v200, v193, v122
	v_dual_add_f32 v211, v122, v210 :: v_dual_add_f32 v114, v115, v120
	v_sub_f32_e32 v212, v121, v182
	v_fma_f32 v122, -0.5, v183, v187
	v_add_f32_e32 v187, v110, v158
	v_fmamk_f32 v191, v207, 0xbf5db3d7, v156
	v_fmac_f32_e32 v156, 0x3f5db3d7, v207
	v_add_f32_e32 v115, v195, v203
	v_add_f32_e32 v195, v192, v121
	;; [unrolled: 1-line block ×3, first 2 shown]
	v_fma_f32 v121, -0.5, v157, v186
	v_add_f32_e32 v186, v202, v201
	v_fma_f32 v188, -0.5, v198, v188
	v_dual_fmac_f32 v189, -0.5, v197 :: v_dual_add_f32 v120, v206, v208
	v_dual_add_f32 v123, v111, v202 :: v_dual_sub_f32 v206, v202, v201
	v_dual_sub_f32 v198, v158, v184 :: v_dual_add_f32 v157, v195, v182
	v_fma_f32 v192, -0.5, v203, v192
	v_dual_add_f32 v182, v187, v184 :: v_dual_fmac_f32 v193, -0.5, v211
	v_fma_f32 v110, -0.5, v190, v110
	v_fmac_f32_e32 v111, -0.5, v186
	v_fmamk_f32 v184, v185, 0x3f5db3d7, v121
	v_fmac_f32_e32 v121, 0xbf5db3d7, v185
	v_fmamk_f32 v185, v194, 0xbf5db3d7, v122
	v_fmac_f32_e32 v122, 0x3f5db3d7, v194
	v_fmamk_f32 v186, v196, 0x3f5db3d7, v188
	v_dual_fmac_f32 v188, 0xbf5db3d7, v196 :: v_dual_fmamk_f32 v187, v199, 0xbf5db3d7, v189
	v_fmac_f32_e32 v189, 0x3f5db3d7, v199
	v_fmamk_f32 v190, v205, 0x3f5db3d7, v155
	v_dual_fmac_f32 v155, 0xbf5db3d7, v205 :: v_dual_add_f32 v158, v200, v210
	v_dual_add_f32 v183, v123, v201 :: v_dual_fmamk_f32 v194, v209, 0x3f5db3d7, v192
	v_dual_fmac_f32 v192, 0xbf5db3d7, v209 :: v_dual_fmamk_f32 v195, v212, 0xbf5db3d7, v193
	v_dual_fmac_f32 v193, 0x3f5db3d7, v212 :: v_dual_fmamk_f32 v196, v206, 0x3f5db3d7, v110
	;; [unrolled: 1-line block ×3, first 2 shown]
	v_fmac_f32_e32 v111, 0x3f5db3d7, v198
	ds_store_b64 v159, v[184:185] offset:9000
	ds_store_b64 v159, v[121:122] offset:18000
	ds_store_2addr_b64 v159, v[112:113], v[114:115] offset1:225
	ds_store_2addr_b64 v181, v[188:189], v[155:156] offset0:11 offset1:236
	ds_store_2addr_b64 v164, v[186:187], v[190:191] offset0:6 offset1:231
	;; [unrolled: 1-line block ×3, first 2 shown]
	ds_store_b64 v159, v[192:193] offset:23400
	ds_store_b64 v159, v[182:183] offset:7200
	ds_store_2addr_b64 v162, v[194:195], v[196:197] offset0:8 offset1:233
	ds_store_b64 v159, v[110:111] offset:25200
	global_wb scope:SCOPE_SE
	s_wait_dscnt 0x0
	s_barrier_signal -1
	s_barrier_wait -1
	global_inv scope:SCOPE_SE
	s_clause 0xe
	global_load_b64 v[114:115], v159, s[8:9] offset:27000
	global_load_b64 v[182:183], v159, s[2:3] offset:1800
	;; [unrolled: 1-line block ×15, first 2 shown]
	ds_load_2addr_b64 v[110:113], v159 offset1:225
	s_load_b64 s[2:3], s[0:1], 0x38
	s_mul_u64 s[0:1], s[4:5], 0x1518
	s_wait_loadcnt_dscnt 0xd00
	v_mul_f32_e32 v213, v112, v183
	s_delay_alu instid0(VALU_DEP_1) | instskip(SKIP_2) | instid1(VALU_DEP_2)
	v_fmac_f32_e32 v213, v113, v182
	v_mul_f32_e32 v119, v111, v115
	v_mul_f32_e32 v120, v110, v115
	v_fma_f32 v119, v110, v114, -v119
	s_delay_alu instid0(VALU_DEP_2)
	v_fmac_f32_e32 v120, v111, v114
	v_mul_f32_e32 v110, v113, v183
	ds_store_b64 v159, v[119:120]
	ds_load_2addr_b64 v[119:122], v164 offset0:6 offset1:231
	ds_load_b64 v[210:211], v159 offset:25200
	v_fma_f32 v212, v112, v182, -v110
	ds_load_2addr_b64 v[155:158], v165 offset0:12 offset1:237
	s_wait_loadcnt_dscnt 0xc02
	v_mul_f32_e32 v110, v120, v185
	v_mul_f32_e32 v183, v119, v185
	s_wait_loadcnt 0xb
	v_mul_f32_e32 v111, v122, v187
	s_wait_loadcnt_dscnt 0xa00
	v_dual_mul_f32 v185, v121, v187 :: v_dual_mul_f32 v114, v156, v189
	v_fma_f32 v182, v119, v184, -v110
	v_fmac_f32_e32 v183, v120, v184
	v_fma_f32 v184, v121, v186, -v111
	ds_load_2addr_b64 v[110:113], v163 offset0:2 offset1:227
	v_mul_f32_e32 v187, v155, v189
	s_wait_loadcnt 0x9
	v_mul_f32_e32 v115, v158, v191
	v_fmac_f32_e32 v185, v122, v186
	v_fma_f32 v186, v155, v188, -v114
	ds_load_2addr_b64 v[119:122], v160 offset0:4 offset1:229
	v_fmac_f32_e32 v187, v156, v188
	v_fma_f32 v188, v157, v190, -v115
	v_mul_f32_e32 v189, v157, v191
	s_delay_alu instid0(VALU_DEP_1)
	v_fmac_f32_e32 v189, v158, v190
	ds_load_2addr_b64 v[155:158], v161 offset0:10 offset1:235
	s_wait_loadcnt_dscnt 0x802
	v_mul_f32_e32 v114, v113, v193
	v_mul_f32_e32 v191, v112, v193
	s_wait_loadcnt 0x7
	v_mul_f32_e32 v115, v111, v195
	v_mul_f32_e32 v193, v110, v195
	v_fma_f32 v190, v112, v192, -v114
	v_fmac_f32_e32 v191, v113, v192
	s_delay_alu instid0(VALU_DEP_4)
	v_fma_f32 v192, v110, v194, -v115
	ds_load_2addr_b64 v[112:115], v162 offset0:8 offset1:233
	v_fmac_f32_e32 v193, v111, v194
	s_wait_loadcnt_dscnt 0x602
	v_mul_f32_e32 v111, v119, v197
	s_wait_loadcnt 0x5
	v_dual_mul_f32 v110, v120, v197 :: v_dual_mul_f32 v123, v122, v199
	v_add_nc_u32_e32 v197, 0x700, v159
	s_delay_alu instid0(VALU_DEP_3) | instskip(NEXT) | instid1(VALU_DEP_3)
	v_dual_fmac_f32 v111, v120, v196 :: v_dual_mul_f32 v120, v121, v199
	v_fma_f32 v110, v119, v196, -v110
	s_delay_alu instid0(VALU_DEP_4)
	v_fma_f32 v119, v121, v198, -v123
	v_add_nc_u32_e32 v123, 0x1500, v159
	v_add_nc_u32_e32 v196, 0x3f00, v159
	v_fmac_f32_e32 v120, v122, v198
	s_wait_loadcnt_dscnt 0x201
	v_dual_mul_f32 v198, v158, v205 :: v_dual_add_nc_u32 v199, 0x2300, v159
	s_wait_loadcnt_dscnt 0x100
	v_mul_f32_e32 v195, v112, v207
	v_dual_mul_f32 v194, v113, v207 :: v_dual_mul_f32 v121, v115, v201
	s_delay_alu instid0(VALU_DEP_2) | instskip(SKIP_1) | instid1(VALU_DEP_3)
	v_dual_mul_f32 v122, v114, v201 :: v_dual_fmac_f32 v195, v113, v206
	v_mul_f32_e32 v113, v155, v203
	v_fma_f32 v194, v112, v206, -v194
	v_mul_f32_e32 v112, v156, v203
	v_fma_f32 v121, v114, v200, -v121
	v_fmac_f32_e32 v122, v115, v200
	s_wait_loadcnt 0x0
	v_mul_f32_e32 v114, v211, v209
	v_mul_f32_e32 v115, v210, v209
	v_dual_fmac_f32 v113, v156, v202 :: v_dual_mul_f32 v156, v157, v205
	v_fma_f32 v112, v155, v202, -v112
	s_delay_alu instid0(VALU_DEP_4) | instskip(NEXT) | instid1(VALU_DEP_4)
	v_fma_f32 v114, v210, v208, -v114
	v_fmac_f32_e32 v115, v211, v208
	v_fma_f32 v155, v157, v204, -v198
	v_fmac_f32_e32 v156, v158, v204
	ds_store_2addr_b64 v123, v[190:191], v[110:111] offset0:3 offset1:228
	ds_store_2addr_b64 v196, v[121:122], v[112:113] offset0:9 offset1:234
	;; [unrolled: 1-line block ×7, first 2 shown]
	global_wb scope:SCOPE_SE
	s_wait_dscnt 0x0
	s_wait_kmcnt 0x0
	s_barrier_signal -1
	s_barrier_wait -1
	global_inv scope:SCOPE_SE
	ds_load_2addr_b64 v[108:111], v163 offset0:2 offset1:227
	ds_load_2addr_b64 v[119:122], v164 offset0:6 offset1:231
	;; [unrolled: 1-line block ×3, first 2 shown]
	ds_load_2addr_b64 v[112:115], v159 offset1:225
	ds_load_2addr_b64 v[182:185], v160 offset0:4 offset1:229
	ds_load_2addr_b64 v[186:189], v161 offset0:10 offset1:235
	s_wait_dscnt 0x4
	v_dual_sub_f32 v123, v110, v119 :: v_dual_sub_f32 v194, v119, v110
	s_wait_dscnt 0x2
	v_dual_add_f32 v190, v112, v110 :: v_dual_add_f32 v191, v113, v111
	s_wait_dscnt 0x1
	v_add_f32_e32 v192, v114, v182
	s_wait_dscnt 0x0
	v_sub_f32_e32 v202, v122, v187
	v_dual_add_f32 v193, v115, v183 :: v_dual_add_f32 v196, v120, v158
	v_dual_sub_f32 v197, v111, v120 :: v_dual_sub_f32 v198, v120, v111
	v_dual_sub_f32 v199, v120, v158 :: v_dual_sub_f32 v200, v119, v157
	v_add_f32_e32 v195, v119, v157
	v_add_f32_e32 v201, v121, v186
	v_dual_sub_f32 v203, v182, v121 :: v_dual_sub_f32 v204, v121, v182
	v_dual_add_f32 v205, v122, v187 :: v_dual_sub_f32 v206, v121, v186
	v_sub_f32_e32 v208, v122, v183
	v_dual_add_f32 v190, v190, v119 :: v_dual_add_f32 v191, v191, v120
	v_dual_add_f32 v192, v192, v121 :: v_dual_add_f32 v193, v193, v122
	v_dual_sub_f32 v226, v156, v189 :: v_dual_sub_f32 v207, v183, v122
	ds_load_2addr_b64 v[119:122], v165 offset0:12 offset1:237
	v_dual_add_f32 v192, v192, v186 :: v_dual_sub_f32 v225, v155, v188
	v_add_f32_e32 v190, v190, v157
	v_sub_f32_e32 v220, v156, v185
	v_sub_f32_e32 v224, v184, v155
	s_wait_dscnt 0x0
	v_dual_add_f32 v211, v110, v119 :: v_dual_add_f32 v212, v111, v120
	v_dual_sub_f32 v213, v111, v120 :: v_dual_sub_f32 v214, v110, v119
	ds_load_b64 v[110:111], v159 offset:25200
	v_sub_f32_e32 v210, v120, v158
	v_add_f32_e32 v192, v192, v121
	v_dual_sub_f32 v216, v121, v186 :: v_dual_add_f32 v217, v182, v121
	v_sub_f32_e32 v186, v186, v121
	v_dual_sub_f32 v218, v182, v121 :: v_dual_add_f32 v121, v155, v188
	v_sub_f32_e32 v209, v119, v157
	v_sub_f32_e32 v157, v157, v119
	;; [unrolled: 1-line block ×3, first 2 shown]
	v_add_f32_e32 v190, v190, v119
	v_fma_f32 v121, -0.5, v121, v108
	global_wb scope:SCOPE_SE
	s_wait_dscnt 0x0
	s_barrier_signal -1
	s_barrier_wait -1
	global_inv scope:SCOPE_SE
	v_sub_f32_e32 v223, v185, v111
	v_dual_add_f32 v191, v191, v158 :: v_dual_sub_f32 v158, v158, v120
	v_sub_f32_e32 v221, v184, v110
	v_dual_add_f32 v222, v184, v110 :: v_dual_sub_f32 v227, v110, v188
	s_delay_alu instid0(VALU_DEP_3) | instskip(SKIP_2) | instid1(VALU_DEP_4)
	v_add_f32_e32 v191, v191, v120
	v_add_f32_e32 v120, v108, v184
	v_sub_f32_e32 v184, v155, v184
	v_fma_f32 v108, -0.5, v222, v108
	v_add_f32_e32 v193, v193, v187
	s_delay_alu instid0(VALU_DEP_4) | instskip(NEXT) | instid1(VALU_DEP_1)
	v_add_f32_e32 v120, v120, v155
	v_dual_sub_f32 v155, v189, v111 :: v_dual_add_f32 v120, v120, v188
	v_sub_f32_e32 v188, v188, v110
	s_delay_alu instid0(VALU_DEP_2)
	v_add_f32_e32 v110, v120, v110
	v_fma_f32 v120, -0.5, v196, v113
	v_fma_f32 v113, -0.5, v212, v113
	v_add_f32_e32 v196, v197, v210
	v_dual_add_f32 v197, v198, v158 :: v_dual_add_f32 v198, v220, v155
	v_fma_f32 v155, -0.5, v201, v114
	s_delay_alu instid0(VALU_DEP_4)
	v_fmamk_f32 v158, v200, 0xbf737871, v113
	v_add_f32_e32 v201, v204, v186
	v_sub_f32_e32 v187, v187, v122
	v_add_f32_e32 v219, v185, v111
	v_fmac_f32_e32 v113, 0x3f737871, v200
	v_dual_fmac_f32 v158, 0x3f167918, v214 :: v_dual_add_f32 v123, v123, v209
	v_sub_f32_e32 v215, v183, v122
	v_add_f32_e32 v183, v183, v122
	v_add_f32_e32 v209, v194, v157
	v_fmamk_f32 v194, v226, 0x3f737871, v108
	v_dual_add_f32 v204, v207, v182 :: v_dual_add_f32 v119, v109, v185
	v_dual_sub_f32 v185, v185, v156 :: v_dual_fmac_f32 v108, 0xbf737871, v226
	v_dual_add_f32 v193, v193, v122 :: v_dual_add_f32 v122, v156, v189
	s_delay_alu instid0(VALU_DEP_3)
	v_add_f32_e32 v119, v119, v156
	v_fma_f32 v156, -0.5, v205, v115
	v_fmac_f32_e32 v115, -0.5, v183
	v_fmamk_f32 v183, v214, 0x3f737871, v120
	v_fmac_f32_e32 v120, 0xbf737871, v214
	v_fmac_f32_e32 v194, 0xbf167918, v223
	;; [unrolled: 1-line block ×3, first 2 shown]
	v_fma_f32 v122, -0.5, v122, v109
	s_delay_alu instid0(VALU_DEP_4) | instskip(SKIP_2) | instid1(VALU_DEP_3)
	v_dual_add_f32 v207, v224, v227 :: v_dual_fmac_f32 v120, 0xbf167918, v200
	v_fmac_f32_e32 v183, 0x3f167918, v200
	v_fmac_f32_e32 v113, 0xbf167918, v214
	;; [unrolled: 1-line block ×3, first 2 shown]
	v_fma_f32 v114, -0.5, v217, v114
	s_delay_alu instid0(VALU_DEP_4) | instskip(NEXT) | instid1(VALU_DEP_4)
	v_fmac_f32_e32 v183, 0x3e9e377a, v196
	v_fmac_f32_e32 v113, 0x3e9e377a, v197
	s_delay_alu instid0(VALU_DEP_3) | instskip(SKIP_1) | instid1(VALU_DEP_2)
	v_fmamk_f32 v186, v202, 0x3f737871, v114
	v_fmac_f32_e32 v114, 0xbf737871, v202
	v_fmac_f32_e32 v186, 0xbf167918, v215
	s_delay_alu instid0(VALU_DEP_1) | instskip(SKIP_2) | instid1(VALU_DEP_2)
	v_dual_fmac_f32 v186, 0x3e9e377a, v201 :: v_dual_add_f32 v205, v208, v187
	v_dual_add_f32 v208, v184, v188 :: v_dual_fmamk_f32 v187, v206, 0xbf737871, v115
	v_fmac_f32_e32 v115, 0x3f737871, v206
	v_fmac_f32_e32 v194, 0x3e9e377a, v208
	v_dual_fmac_f32 v108, 0x3f167918, v223 :: v_dual_add_f32 v119, v119, v189
	v_sub_f32_e32 v189, v111, v189
	v_fmamk_f32 v188, v223, 0xbf737871, v121
	v_fmac_f32_e32 v121, 0x3f737871, v223
	s_delay_alu instid0(VALU_DEP_4) | instskip(SKIP_4) | instid1(VALU_DEP_4)
	v_dual_fmac_f32 v108, 0x3e9e377a, v208 :: v_dual_add_f32 v111, v119, v111
	v_fma_f32 v119, -0.5, v195, v112
	v_fma_f32 v112, -0.5, v211, v112
	v_fmac_f32_e32 v188, 0xbf167918, v226
	v_dual_add_f32 v210, v185, v189 :: v_dual_fmamk_f32 v185, v218, 0x3f737871, v156
	v_fmamk_f32 v182, v213, 0xbf737871, v119
	s_delay_alu instid0(VALU_DEP_4)
	v_fmamk_f32 v157, v199, 0x3f737871, v112
	v_fmac_f32_e32 v112, 0xbf737871, v199
	v_fmac_f32_e32 v119, 0x3f737871, v213
	;; [unrolled: 1-line block ×5, first 2 shown]
	v_fmamk_f32 v189, v221, 0x3f737871, v122
	v_fmac_f32_e32 v122, 0xbf737871, v221
	v_fmac_f32_e32 v157, 0xbf167918, v213
	;; [unrolled: 1-line block ×4, first 2 shown]
	v_fmamk_f32 v184, v215, 0xbf737871, v155
	v_fmac_f32_e32 v155, 0x3f737871, v215
	v_dual_fmac_f32 v112, 0x3f167918, v213 :: v_dual_fmac_f32 v119, 0x3f167918, v199
	s_delay_alu instid0(VALU_DEP_4) | instskip(NEXT) | instid1(VALU_DEP_4)
	v_dual_fmac_f32 v114, 0x3e9e377a, v201 :: v_dual_fmac_f32 v109, -0.5, v219
	v_dual_fmac_f32 v184, 0xbf167918, v202 :: v_dual_add_f32 v203, v203, v216
	v_fmac_f32_e32 v185, 0x3f167918, v206
	v_fmac_f32_e32 v187, 0x3f167918, v218
	s_delay_alu instid0(VALU_DEP_4)
	v_fmamk_f32 v195, v225, 0xbf737871, v109
	v_fmac_f32_e32 v109, 0x3f737871, v225
	v_fmac_f32_e32 v115, 0xbf167918, v218
	;; [unrolled: 1-line block ×10, first 2 shown]
	v_dual_fmac_f32 v112, 0x3e9e377a, v209 :: v_dual_fmac_f32 v119, 0x3e9e377a, v123
	v_dual_fmac_f32 v184, 0x3e9e377a, v203 :: v_dual_fmac_f32 v185, 0x3e9e377a, v204
	v_fmac_f32_e32 v109, 0x3e9e377a, v198
	v_fmac_f32_e32 v187, 0x3e9e377a, v205
	;; [unrolled: 1-line block ×3, first 2 shown]
	v_dual_fmac_f32 v155, 0x3e9e377a, v203 :: v_dual_fmac_f32 v156, 0x3e9e377a, v204
	v_fmac_f32_e32 v121, 0x3e9e377a, v207
	v_fmac_f32_e32 v189, 0x3e9e377a, v210
	;; [unrolled: 1-line block ×4, first 2 shown]
	ds_store_2addr_b64 v116, v[190:191], v[182:183] offset1:1
	ds_store_2addr_b64 v116, v[157:158], v[112:113] offset0:2 offset1:3
	ds_store_b64 v116, v[119:120] offset:32
	ds_store_2addr_b64 v118, v[192:193], v[184:185] offset1:1
	ds_store_2addr_b64 v118, v[186:187], v[114:115] offset0:2 offset1:3
	ds_store_b64 v118, v[155:156] offset:32
	ds_store_b64 v117, v[121:122] offset:32
	ds_store_2addr_b64 v117, v[110:111], v[188:189] offset1:1
	ds_store_2addr_b64 v117, v[194:195], v[108:109] offset0:2 offset1:3
	global_wb scope:SCOPE_SE
	s_wait_dscnt 0x0
	s_barrier_signal -1
	s_barrier_wait -1
	global_inv scope:SCOPE_SE
	ds_load_2addr_b64 v[108:111], v163 offset0:2 offset1:227
	ds_load_2addr_b64 v[112:115], v164 offset0:6 offset1:231
	;; [unrolled: 1-line block ×6, first 2 shown]
	ds_load_b64 v[194:195], v159 offset:25200
	ds_load_2addr_b64 v[190:193], v159 offset1:225
	v_mad_co_u64_u32 v[155:156], null, s4, v166, 0
	v_mad_co_u64_u32 v[157:158], null, s6, v154, 0
	global_wb scope:SCOPE_SE
	s_wait_dscnt 0x0
	s_barrier_signal -1
	s_barrier_wait -1
	global_inv scope:SCOPE_SE
	v_dual_mul_f32 v201, v15, v121 :: v_dual_mul_f32 v196, v21, v111
	v_mul_f32_e32 v21, v21, v110
	v_mul_f32_e32 v197, v23, v113
	v_dual_mul_f32 v23, v23, v112 :: v_dual_mul_f32 v200, v13, v119
	v_mul_f32_e32 v13, v13, v118
	v_dual_mul_f32 v15, v15, v120 :: v_dual_mul_f32 v202, v5, v123
	v_mul_f32_e32 v5, v5, v122
	v_dual_mul_f32 v199, v17, v117 :: v_dual_fmac_f32 v196, v20, v110
	v_fma_f32 v20, v20, v111, -v21
	v_fmac_f32_e32 v197, v22, v112
	v_fma_f32 v21, v22, v113, -v23
	v_mul_f32_e32 v22, v7, v183
	v_fmac_f32_e32 v200, v12, v118
	v_fma_f32 v12, v12, v119, -v13
	v_fmac_f32_e32 v201, v14, v120
	v_fma_f32 v13, v14, v121, -v15
	v_fma_f32 v14, v4, v123, -v5
	v_mul_f32_e32 v17, v17, v116
	v_fmac_f32_e32 v199, v16, v116
	v_fmac_f32_e32 v202, v4, v122
	;; [unrolled: 1-line block ×3, first 2 shown]
	v_sub_f32_e32 v116, v21, v14
	v_mul_f32_e32 v7, v7, v182
	v_mul_f32_e32 v198, v19, v115
	;; [unrolled: 1-line block ×3, first 2 shown]
	v_sub_f32_e32 v5, v197, v196
	v_mul_f32_e32 v111, v3, v195
	v_fma_f32 v112, v6, v183, -v7
	v_sub_f32_e32 v6, v202, v22
	v_fmac_f32_e32 v198, v18, v114
	v_fma_f32 v18, v18, v115, -v19
	v_dual_mul_f32 v110, v11, v185 :: v_dual_fmac_f32 v111, v2, v194
	s_delay_alu instid0(VALU_DEP_4)
	v_dual_add_f32 v210, v5, v6 :: v_dual_sub_f32 v115, v20, v112
	v_mul_f32_e32 v19, v1, v189
	v_mul_f32_e32 v11, v11, v184
	v_add_f32_e32 v7, v191, v20
	v_fma_f32 v16, v16, v117, -v17
	v_fmac_f32_e32 v110, v10, v184
	v_fmac_f32_e32 v19, v0, v188
	v_fma_f32 v113, v10, v185, -v11
	v_dual_add_f32 v10, v21, v14 :: v_dual_sub_f32 v11, v20, v21
	v_add_f32_e32 v17, v20, v112
	v_sub_f32_e32 v20, v21, v20
	v_add_f32_e32 v205, v201, v19
	v_add_f32_e32 v21, v7, v21
	;; [unrolled: 1-line block ×4, first 2 shown]
	v_mul_f32_e32 v1, v1, v188
	v_fma_f32 v6, -0.5, v205, v108
	v_add_f32_e32 v4, v196, v22
	v_fma_f32 v108, -0.5, v7, v108
	v_mul_f32_e32 v23, v9, v187
	v_dual_mul_f32 v9, v9, v186 :: v_dual_sub_f32 v184, v198, v199
	v_dual_add_f32 v122, v193, v16 :: v_dual_sub_f32 v15, v112, v14
	s_delay_alu instid0(VALU_DEP_3) | instskip(NEXT) | instid1(VALU_DEP_3)
	v_fmac_f32_e32 v23, v8, v186
	v_fma_f32 v8, v8, v187, -v9
	v_fma_f32 v9, v0, v189, -v1
	v_add_f32_e32 v0, v190, v196
	v_sub_f32_e32 v119, v14, v112
	v_add_f32_e32 v121, v198, v23
	v_dual_sub_f32 v188, v18, v8 :: v_dual_mul_f32 v3, v3, v194
	v_dual_sub_f32 v186, v23, v110 :: v_dual_add_f32 v189, v18, v8
	v_sub_f32_e32 v194, v16, v18
	v_add_f32_e32 v21, v21, v14
	s_delay_alu instid0(VALU_DEP_4) | instskip(SKIP_3) | instid1(VALU_DEP_4)
	v_fma_f32 v114, v2, v195, -v3
	v_dual_sub_f32 v2, v196, v197 :: v_dual_sub_f32 v3, v22, v202
	v_sub_f32_e32 v195, v18, v16
	v_fma_f32 v5, -0.5, v189, v193
	v_sub_f32_e32 v189, v12, v114
	v_add_f32_e32 v18, v122, v18
	v_add_f32_e32 v208, v2, v3
	v_fma_f32 v2, -0.5, v4, v190
	v_fma_f32 v4, -0.5, v121, v192
	v_add_f32_e32 v121, v184, v186
	v_sub_f32_e32 v117, v196, v22
	v_sub_f32_e32 v196, v16, v113
	v_add_f32_e32 v16, v16, v113
	v_sub_f32_e32 v186, v13, v9
	v_sub_f32_e32 v203, v8, v113
	v_add_f32_e32 v209, v13, v9
	v_add_f32_e32 v21, v21, v112
	v_dual_fmac_f32 v193, -0.5, v16 :: v_dual_fmamk_f32 v16, v189, 0xbf737871, v6
	v_fmac_f32_e32 v6, 0x3f737871, v189
	v_sub_f32_e32 v118, v197, v202
	v_fma_f32 v7, -0.5, v209, v109
	s_delay_alu instid0(VALU_DEP_4) | instskip(SKIP_4) | instid1(VALU_DEP_4)
	v_fmac_f32_e32 v16, 0xbf167918, v186
	v_dual_add_f32 v183, v199, v110 :: v_dual_add_f32 v120, v192, v199
	v_sub_f32_e32 v123, v199, v198
	v_sub_f32_e32 v187, v199, v110
	;; [unrolled: 1-line block ×3, first 2 shown]
	v_fma_f32 v192, -0.5, v183, v192
	v_add_f32_e32 v120, v120, v198
	s_delay_alu instid0(VALU_DEP_3) | instskip(NEXT) | instid1(VALU_DEP_3)
	v_dual_fmac_f32 v6, 0x3f167918, v186 :: v_dual_add_f32 v183, v194, v199
	v_fmamk_f32 v14, v188, 0x3f737871, v192
	v_fmac_f32_e32 v192, 0xbf737871, v188
	s_delay_alu instid0(VALU_DEP_2)
	v_fmac_f32_e32 v14, 0xbf167918, v196
	v_sub_f32_e32 v182, v110, v23
	v_sub_f32_e32 v185, v198, v23
	v_dual_add_f32 v23, v120, v23 :: v_dual_add_f32 v120, v18, v8
	v_fmamk_f32 v18, v186, 0x3f737871, v108
	v_fmac_f32_e32 v108, 0xbf737871, v186
	v_dual_fmac_f32 v192, 0x3f167918, v196 :: v_dual_add_f32 v123, v123, v182
	s_delay_alu instid0(VALU_DEP_3) | instskip(SKIP_1) | instid1(VALU_DEP_4)
	v_dual_add_f32 v1, v197, v202 :: v_dual_fmac_f32 v18, 0xbf167918, v189
	v_sub_f32_e32 v206, v200, v201
	v_dual_fmac_f32 v108, 0x3f167918, v189 :: v_dual_sub_f32 v207, v111, v19
	v_sub_f32_e32 v198, v201, v200
	v_dual_sub_f32 v122, v19, v111 :: v_dual_add_f32 v197, v0, v197
	v_fma_f32 v0, -0.5, v1, v190
	s_delay_alu instid0(VALU_DEP_4)
	v_add_f32_e32 v194, v206, v207
	v_fma_f32 v1, -0.5, v10, v191
	v_sub_f32_e32 v10, v12, v13
	v_add_f32_e32 v122, v198, v122
	v_sub_f32_e32 v182, v9, v114
	v_dual_fmac_f32 v16, 0x3e9e377a, v194 :: v_dual_add_f32 v211, v11, v15
	v_dual_sub_f32 v11, v114, v9 :: v_dual_fmac_f32 v6, 0x3e9e377a, v194
	v_fma_f32 v3, -0.5, v17, v191
	v_dual_add_f32 v191, v195, v203 :: v_dual_fmac_f32 v18, 0x3e9e377a, v122
	v_dual_add_f32 v119, v20, v119 :: v_dual_sub_f32 v20, v13, v12
	s_delay_alu instid0(VALU_DEP_4) | instskip(SKIP_2) | instid1(VALU_DEP_4)
	v_dual_add_f32 v195, v10, v11 :: v_dual_add_f32 v10, v204, v201
	v_add_f32_e32 v17, v109, v12
	v_add_f32_e32 v15, v12, v114
	;; [unrolled: 1-line block ×3, first 2 shown]
	s_delay_alu instid0(VALU_DEP_4) | instskip(NEXT) | instid1(VALU_DEP_4)
	v_dual_add_f32 v20, v197, v202 :: v_dual_add_f32 v197, v10, v19
	v_dual_fmamk_f32 v10, v116, 0x3f737871, v2 :: v_dual_add_f32 v11, v17, v13
	v_sub_f32_e32 v184, v201, v19
	v_sub_f32_e32 v190, v200, v111
	v_fmac_f32_e32 v109, -0.5, v15
	s_delay_alu instid0(VALU_DEP_4)
	v_fmac_f32_e32 v10, 0xbf167918, v115
	v_add_f32_e32 v198, v11, v9
	v_fmac_f32_e32 v192, 0x3e9e377a, v121
	v_fmamk_f32 v9, v117, 0x3f737871, v1
	v_fmac_f32_e32 v2, 0xbf737871, v116
	v_fmac_f32_e32 v10, 0x3e9e377a, v210
	v_dual_fmamk_f32 v8, v115, 0xbf737871, v0 :: v_dual_fmamk_f32 v11, v118, 0xbf737871, v3
	v_dual_fmac_f32 v3, 0x3f737871, v118 :: v_dual_fmac_f32 v0, 0x3f737871, v115
	v_dual_fmac_f32 v1, 0xbf737871, v117 :: v_dual_fmamk_f32 v12, v196, 0xbf737871, v4
	v_fmamk_f32 v13, v187, 0x3f737871, v5
	v_fmamk_f32 v15, v185, 0xbf737871, v193
	v_dual_fmac_f32 v193, 0x3f737871, v185 :: v_dual_fmac_f32 v4, 0x3f737871, v196
	v_fmac_f32_e32 v5, 0xbf737871, v187
	v_fmamk_f32 v17, v190, 0x3f737871, v7
	v_fmac_f32_e32 v7, 0xbf737871, v190
	v_fmamk_f32 v19, v184, 0xbf737871, v109
	v_fmac_f32_e32 v109, 0x3f737871, v184
	v_fmac_f32_e32 v8, 0xbf167918, v116
	v_dual_fmac_f32 v9, 0x3f167918, v118 :: v_dual_fmac_f32 v2, 0x3f167918, v115
	v_fmac_f32_e32 v11, 0x3f167918, v117
	v_fmac_f32_e32 v3, 0xbf167918, v117
	;; [unrolled: 1-line block ×3, first 2 shown]
	v_dual_fmac_f32 v1, 0xbf167918, v118 :: v_dual_fmac_f32 v12, 0xbf167918, v188
	v_fmac_f32_e32 v13, 0x3f167918, v185
	v_fmac_f32_e32 v15, 0x3f167918, v187
	v_dual_fmac_f32 v193, 0xbf167918, v187 :: v_dual_add_f32 v20, v20, v22
	v_fmac_f32_e32 v4, 0x3f167918, v188
	v_fmac_f32_e32 v5, 0xbf167918, v185
	;; [unrolled: 1-line block ×6, first 2 shown]
	v_dual_fmac_f32 v8, 0x3e9e377a, v208 :: v_dual_fmac_f32 v9, 0x3e9e377a, v211
	v_dual_fmac_f32 v2, 0x3e9e377a, v210 :: v_dual_fmac_f32 v11, 0x3e9e377a, v119
	;; [unrolled: 1-line block ×3, first 2 shown]
	v_dual_fmac_f32 v1, 0x3e9e377a, v211 :: v_dual_add_f32 v22, v23, v110
	v_dual_add_f32 v23, v120, v113 :: v_dual_fmac_f32 v12, 0x3e9e377a, v123
	v_dual_fmac_f32 v13, 0x3e9e377a, v183 :: v_dual_fmac_f32 v14, 0x3e9e377a, v121
	v_fmac_f32_e32 v15, 0x3e9e377a, v191
	v_fmac_f32_e32 v193, 0x3e9e377a, v191
	v_dual_add_f32 v110, v197, v111 :: v_dual_add_f32 v111, v198, v114
	v_fmac_f32_e32 v4, 0x3e9e377a, v123
	v_dual_fmac_f32 v5, 0x3e9e377a, v183 :: v_dual_fmac_f32 v108, 0x3e9e377a, v122
	v_fmac_f32_e32 v17, 0x3e9e377a, v195
	v_fmac_f32_e32 v7, 0x3e9e377a, v195
	v_fmac_f32_e32 v19, 0x3e9e377a, v182
	v_fmac_f32_e32 v109, 0x3e9e377a, v182
	ds_store_2addr_b64 v167, v[20:21], v[8:9] offset1:5
	ds_store_2addr_b64 v167, v[10:11], v[2:3] offset0:10 offset1:15
	ds_store_b64 v167, v[0:1] offset:160
	ds_store_2addr_b64 v169, v[22:23], v[12:13] offset1:5
	ds_store_2addr_b64 v169, v[14:15], v[192:193] offset0:10 offset1:15
	ds_store_b64 v169, v[4:5] offset:160
	;; [unrolled: 3-line block ×3, first 2 shown]
	v_mov_b32_e32 v20, v156
	v_mad_co_u64_u32 v[108:109], null, s7, v154, v[158:159]
	global_wb scope:SCOPE_SE
	s_wait_dscnt 0x0
	s_barrier_signal -1
	s_barrier_wait -1
	global_inv scope:SCOPE_SE
	ds_load_2addr_b64 v[0:3], v163 offset0:2 offset1:227
	ds_load_2addr_b64 v[4:7], v164 offset0:6 offset1:231
	;; [unrolled: 1-line block ×5, first 2 shown]
	v_mad_co_u64_u32 v[112:113], null, s5, v166, v[20:21]
	ds_load_2addr_b64 v[20:23], v161 offset0:10 offset1:235
	v_mov_b32_e32 v158, v108
	ds_load_2addr_b64 v[108:111], v159 offset1:225
	ds_load_b64 v[113:114], v159 offset:25200
	global_wb scope:SCOPE_SE
	s_wait_dscnt 0x0
	s_barrier_signal -1
	s_barrier_wait -1
	global_inv scope:SCOPE_SE
	s_mov_b32 s6, 0xe70b7421
	s_mov_b32 s7, 0x3f336b06
	v_mul_f32_e32 v115, v25, v3
	v_dual_mul_f32 v25, v25, v2 :: v_dual_mul_f32 v116, v27, v5
	v_mul_f32_e32 v27, v27, v4
	v_mul_f32_e32 v123, v37, v19
	v_dual_mul_f32 v37, v37, v18 :: v_dual_mul_f32 v154, v39, v9
	v_dual_mul_f32 v39, v39, v8 :: v_dual_mul_f32 v156, v29, v23
	v_mul_f32_e32 v29, v29, v22
	v_mul_f32_e32 v166, v31, v114
	v_mul_f32_e32 v31, v31, v113
	v_fmac_f32_e32 v115, v24, v2
	v_fma_f32 v2, v24, v3, -v25
	v_fma_f32 v3, v26, v5, -v27
	;; [unrolled: 1-line block ×5, first 2 shown]
	v_mul_f32_e32 v119, v41, v17
	v_dual_mul_f32 v41, v41, v16 :: v_dual_mul_f32 v122, v35, v15
	v_fma_f32 v27, v30, v114, -v31
	s_delay_alu instid0(VALU_DEP_4)
	v_dual_sub_f32 v168, v9, v19 :: v_dual_mul_f32 v35, v35, v14
	v_mul_f32_e32 v120, v43, v7
	v_fmac_f32_e32 v116, v26, v4
	v_fma_f32 v4, v40, v17, -v41
	v_sub_f32_e32 v167, v5, v27
	v_mul_f32_e32 v121, v33, v21
	v_fma_f32 v25, v34, v15, -v35
	v_dual_mul_f32 v117, v45, v11 :: v_dual_mul_f32 v118, v47, v13
	v_mul_f32_e32 v43, v43, v6
	v_dual_mul_f32 v33, v33, v20 :: v_dual_fmac_f32 v120, v42, v6
	v_fmac_f32_e32 v122, v34, v14
	v_sub_f32_e32 v34, v4, v25
	v_fmac_f32_e32 v119, v40, v16
	v_fmac_f32_e32 v121, v32, v20
	v_mul_f32_e32 v45, v45, v10
	v_dual_fmac_f32 v117, v44, v10 :: v_dual_fmac_f32 v118, v46, v12
	v_fma_f32 v7, v42, v7, -v43
	v_fma_f32 v17, v32, v21, -v33
	v_fmac_f32_e32 v154, v38, v8
	v_add_f32_e32 v6, v108, v115
	v_dual_add_f32 v33, v120, v121 :: v_dual_add_f32 v38, v119, v122
	v_fma_f32 v11, v44, v11, -v45
	v_add_f32_e32 v8, v116, v117
	v_sub_f32_e32 v10, v115, v116
	v_dual_sub_f32 v14, v116, v115 :: v_dual_sub_f32 v15, v117, v118
	v_dual_add_f32 v16, v109, v2 :: v_dual_sub_f32 v29, v116, v117
	v_dual_add_f32 v32, v110, v119 :: v_dual_sub_f32 v35, v7, v17
	v_add_f32_e32 v116, v6, v116
	v_fma_f32 v6, -0.5, v33, v110
	v_fma_f32 v110, -0.5, v38, v110
	v_mul_f32_e32 v47, v47, v12
	v_fmac_f32_e32 v123, v36, v18
	v_fmac_f32_e32 v156, v28, v22
	v_add_f32_e32 v18, v3, v11
	v_add_f32_e32 v41, v111, v4
	;; [unrolled: 1-line block ×4, first 2 shown]
	v_fmamk_f32 v16, v35, 0x3f737871, v110
	v_fmac_f32_e32 v166, v30, v113
	v_sub_f32_e32 v26, v3, v11
	v_sub_f32_e32 v20, v2, v3
	v_sub_f32_e32 v30, v3, v2
	v_fma_f32 v3, -0.5, v18, v109
	v_add_f32_e32 v18, v41, v7
	v_add_f32_e32 v41, v14, v11
	v_fmamk_f32 v14, v34, 0xbf737871, v6
	v_fmac_f32_e32 v6, 0x3f737871, v34
	v_fma_f32 v24, v46, v13, -v47
	v_fmac_f32_e32 v16, 0xbf167918, v34
	v_dual_sub_f32 v36, v119, v120 :: v_dual_sub_f32 v39, v120, v119
	v_sub_f32_e32 v43, v119, v122
	v_add_f32_e32 v119, v154, v156
	v_sub_f32_e32 v23, v2, v24
	v_dual_add_f32 v22, v2, v24 :: v_dual_sub_f32 v45, v4, v7
	v_sub_f32_e32 v46, v25, v17
	v_fma_f32 v2, -0.5, v8, v108
	v_fma_f32 v8, -0.5, v119, v0
	v_dual_fmac_f32 v110, 0xbf737871, v35 :: v_dual_sub_f32 v31, v11, v24
	s_delay_alu instid0(VALU_DEP_4) | instskip(NEXT) | instid1(VALU_DEP_3)
	v_add_f32_e32 v33, v45, v46
	v_dual_add_f32 v45, v18, v17 :: v_dual_fmamk_f32 v18, v167, 0xbf737871, v8
	s_delay_alu instid0(VALU_DEP_3) | instskip(SKIP_2) | instid1(VALU_DEP_3)
	v_dual_fmac_f32 v110, 0x3f167918, v34 :: v_dual_sub_f32 v37, v122, v121
	v_sub_f32_e32 v21, v24, v11
	v_dual_add_f32 v183, v123, v166 :: v_dual_add_f32 v30, v30, v31
	v_dual_fmac_f32 v14, 0xbf167918, v35 :: v_dual_add_f32 v31, v36, v37
	v_dual_fmac_f32 v18, 0xbf167918, v168 :: v_dual_add_f32 v13, v115, v118
	v_dual_sub_f32 v28, v115, v118 :: v_dual_add_f32 v115, v0, v123
	v_add_f32_e32 v196, v20, v21
	v_fma_f32 v0, -0.5, v183, v0
	v_dual_fmac_f32 v8, 0x3f737871, v167 :: v_dual_sub_f32 v185, v156, v166
	s_delay_alu instid0(VALU_DEP_4) | instskip(SKIP_3) | instid1(VALU_DEP_4)
	v_add_f32_e32 v20, v115, v154
	v_add_f32_e32 v42, v7, v17
	;; [unrolled: 1-line block ×4, first 2 shown]
	v_dual_add_f32 v187, v9, v19 :: v_dual_add_f32 v46, v20, v156
	v_fmamk_f32 v20, v168, 0x3f737871, v0
	v_dual_fmac_f32 v0, 0xbf737871, v168 :: v_dual_add_f32 v191, v5, v27
	v_fmac_f32_e32 v8, 0x3f167918, v168
	v_sub_f32_e32 v12, v118, v117
	s_delay_alu instid0(VALU_DEP_4) | instskip(SKIP_4) | instid1(VALU_DEP_4)
	v_fmac_f32_e32 v20, 0xbf167918, v167
	v_dual_sub_f32 v184, v154, v123 :: v_dual_sub_f32 v113, v7, v4
	v_sub_f32_e32 v189, v5, v9
	v_sub_f32_e32 v192, v9, v5
	v_fma_f32 v5, -0.5, v22, v109
	v_add_f32_e32 v38, v184, v185
	v_fmac_f32_e32 v0, 0x3f167918, v167
	v_fmac_f32_e32 v14, 0x3e9e377a, v31
	v_fma_f32 v4, -0.5, v13, v108
	v_add_f32_e32 v15, v32, v120
	v_fma_f32 v7, -0.5, v42, v111
	v_dual_sub_f32 v44, v120, v121 :: v_dual_fmac_f32 v111, -0.5, v47
	v_sub_f32_e32 v169, v123, v154
	v_dual_sub_f32 v123, v123, v166 :: v_dual_sub_f32 v188, v154, v156
	v_add_f32_e32 v194, v10, v12
	v_add_f32_e32 v21, v186, v9
	v_fma_f32 v9, -0.5, v187, v1
	v_dual_fmac_f32 v1, -0.5, v191 :: v_dual_fmamk_f32 v10, v23, 0xbf737871, v2
	v_dual_fmamk_f32 v11, v28, 0x3f737871, v3 :: v_dual_fmamk_f32 v12, v26, 0x3f737871, v4
	v_fmac_f32_e32 v4, 0xbf737871, v26
	v_fmac_f32_e32 v0, 0x3e9e377a, v38
	v_fmamk_f32 v13, v29, 0xbf737871, v5
	v_dual_fmac_f32 v5, 0x3f737871, v29 :: v_dual_fmac_f32 v2, 0x3f737871, v23
	v_dual_fmac_f32 v3, 0xbf737871, v28 :: v_dual_add_f32 v42, v15, v121
	v_dual_fmamk_f32 v15, v43, 0x3f737871, v7 :: v_dual_sub_f32 v40, v121, v122
	v_dual_sub_f32 v114, v17, v25 :: v_dual_fmamk_f32 v17, v44, 0xbf737871, v111
	v_fmac_f32_e32 v111, 0x3f737871, v44
	v_sub_f32_e32 v182, v166, v156
	v_sub_f32_e32 v190, v27, v19
	v_dual_sub_f32 v193, v19, v27 :: v_dual_add_f32 v22, v116, v117
	v_fmac_f32_e32 v7, 0xbf737871, v43
	v_add_f32_e32 v47, v21, v19
	v_fmamk_f32 v19, v123, 0x3f737871, v9
	v_fmac_f32_e32 v9, 0xbf737871, v123
	v_fmamk_f32 v21, v188, 0xbf737871, v1
	v_fmac_f32_e32 v1, 0x3f737871, v188
	v_fmac_f32_e32 v10, 0xbf167918, v26
	;; [unrolled: 1-line block ×4, first 2 shown]
	v_dual_fmac_f32 v4, 0x3f167918, v23 :: v_dual_fmac_f32 v13, 0x3f167918, v28
	v_fmac_f32_e32 v5, 0xbf167918, v28
	v_fmac_f32_e32 v2, 0x3f167918, v26
	;; [unrolled: 1-line block ×4, first 2 shown]
	v_add_f32_e32 v32, v39, v40
	v_dual_add_f32 v36, v113, v114 :: v_dual_fmac_f32 v17, 0x3f167918, v43
	v_fmac_f32_e32 v111, 0xbf167918, v43
	v_add_f32_e32 v37, v169, v182
	v_dual_add_f32 v39, v189, v190 :: v_dual_add_f32 v40, v192, v193
	v_dual_add_f32 v22, v22, v118 :: v_dual_add_f32 v23, v41, v24
	v_fmac_f32_e32 v6, 0x3f167918, v35
	v_fmac_f32_e32 v7, 0xbf167918, v44
	;; [unrolled: 1-line block ×6, first 2 shown]
	v_dual_fmac_f32 v10, 0x3e9e377a, v194 :: v_dual_fmac_f32 v11, 0x3e9e377a, v196
	v_fmac_f32_e32 v12, 0x3e9e377a, v195
	v_dual_fmac_f32 v4, 0x3e9e377a, v195 :: v_dual_fmac_f32 v13, 0x3e9e377a, v30
	v_fmac_f32_e32 v5, 0x3e9e377a, v30
	v_dual_fmac_f32 v2, 0x3e9e377a, v194 :: v_dual_fmac_f32 v3, 0x3e9e377a, v196
	v_dual_add_f32 v24, v42, v122 :: v_dual_add_f32 v25, v45, v25
	v_dual_fmac_f32 v15, 0x3e9e377a, v33 :: v_dual_fmac_f32 v16, 0x3e9e377a, v32
	v_fmac_f32_e32 v110, 0x3e9e377a, v32
	v_fmac_f32_e32 v17, 0x3e9e377a, v36
	v_dual_fmac_f32 v111, 0x3e9e377a, v36 :: v_dual_add_f32 v26, v46, v166
	v_add_f32_e32 v27, v47, v27
	v_dual_fmac_f32 v6, 0x3e9e377a, v31 :: v_dual_fmac_f32 v7, 0x3e9e377a, v33
	v_fmac_f32_e32 v18, 0x3e9e377a, v37
	v_fmac_f32_e32 v8, 0x3e9e377a, v37
	v_dual_fmac_f32 v20, 0x3e9e377a, v38 :: v_dual_fmac_f32 v19, 0x3e9e377a, v39
	v_fmac_f32_e32 v9, 0x3e9e377a, v39
	v_fmac_f32_e32 v21, 0x3e9e377a, v40
	;; [unrolled: 1-line block ×3, first 2 shown]
	ds_store_2addr_b64 v170, v[22:23], v[10:11] offset1:25
	ds_store_2addr_b64 v170, v[12:13], v[4:5] offset0:50 offset1:75
	ds_store_b64 v170, v[2:3] offset:800
	ds_store_2addr_b64 v171, v[24:25], v[14:15] offset1:25
	ds_store_2addr_b64 v171, v[16:17], v[110:111] offset0:50 offset1:75
	ds_store_b64 v171, v[6:7] offset:800
	;; [unrolled: 3-line block ×3, first 2 shown]
	v_lshlrev_b64_e32 v[16:17], 3, v[157:158]
	global_wb scope:SCOPE_SE
	s_wait_dscnt 0x0
	s_barrier_signal -1
	s_barrier_wait -1
	global_inv scope:SCOPE_SE
	ds_load_2addr_b64 v[0:3], v160 offset0:4 offset1:229
	ds_load_2addr_b64 v[12:15], v165 offset0:12 offset1:237
	v_add_co_u32 v32, vcc_lo, s2, v16
	ds_load_2addr_b64 v[4:7], v161 offset0:10 offset1:235
	ds_load_2addr_b64 v[8:11], v164 offset0:6 offset1:231
	s_wait_alu 0xfffd
	v_add_co_ci_u32_e32 v33, vcc_lo, s3, v17, vcc_lo
	ds_load_2addr_b64 v[16:19], v162 offset0:8 offset1:233
	ds_load_2addr_b64 v[20:23], v159 offset1:225
	ds_load_2addr_b64 v[24:27], v163 offset0:2 offset1:227
	ds_load_b64 v[30:31], v159 offset:25200
	v_mov_b32_e32 v156, v112
	global_wb scope:SCOPE_SE
	s_wait_dscnt 0x0
	s_barrier_signal -1
	s_barrier_wait -1
	global_inv scope:SCOPE_SE
	v_lshlrev_b64_e32 v[28:29], 3, v[155:156]
	s_mul_i32 s2, s5, 0xffffb2a8
	s_wait_alu 0xfffe
	s_sub_co_i32 s2, s2, s4
	v_mul_f32_e32 v34, v49, v3
	v_mul_f32_e32 v35, v49, v2
	v_mul_f32_e32 v49, v63, v15
	v_mul_f32_e32 v44, v59, v13
	v_mul_f32_e32 v36, v51, v5
	v_dual_mul_f32 v46, v61, v17 :: v_dual_mul_f32 v37, v51, v4
	v_mul_f32_e32 v38, v53, v9
	v_dual_mul_f32 v39, v53, v8 :: v_dual_mul_f32 v40, v55, v7
	v_dual_mul_f32 v41, v55, v6 :: v_dual_mul_f32 v42, v57, v11
	v_mul_f32_e32 v45, v59, v12
	v_mul_f32_e32 v47, v61, v16
	;; [unrolled: 1-line block ×4, first 2 shown]
	v_dual_mul_f32 v59, v67, v30 :: v_dual_fmac_f32 v46, v60, v16
	v_fmac_f32_e32 v49, v62, v14
	v_fmac_f32_e32 v34, v48, v2
	;; [unrolled: 1-line block ×4, first 2 shown]
	v_fma_f32 v4, v52, v9, -v39
	v_fmac_f32_e32 v40, v54, v6
	v_fmac_f32_e32 v42, v56, v10
	;; [unrolled: 1-line block ×3, first 2 shown]
	v_fma_f32 v9, v58, v13, -v45
	v_fma_f32 v6, v60, v17, -v47
	;; [unrolled: 1-line block ×5, first 2 shown]
	v_add_f32_e32 v47, v46, v49
	v_mul_f32_e32 v53, v65, v19
	v_fma_f32 v2, v48, v3, -v35
	v_fma_f32 v3, v50, v5, -v37
	v_add_f32_e32 v16, v22, v38
	v_add_f32_e32 v19, v38, v40
	v_sub_f32_e32 v35, v38, v40
	v_add_f32_e32 v38, v42, v44
	v_add_f32_e32 v45, v26, v46
	v_dual_sub_f32 v48, v6, v13 :: v_dual_sub_f32 v55, v8, v15
	v_mul_f32_e32 v43, v57, v10
	v_add_f32_e32 v10, v20, v34
	v_fma_f32 v26, -0.5, v47, v26
	v_mul_f32_e32 v57, v67, v31
	v_dual_sub_f32 v17, v2, v3 :: v_dual_add_f32 v12, v21, v2
	v_dual_add_f32 v14, v2, v3 :: v_dual_add_f32 v37, v24, v42
	v_add_f32_e32 v2, v10, v36
	v_fma_f32 v10, -0.5, v38, v24
	v_fmamk_f32 v24, v48, 0xbf5db3d7, v26
	v_fmac_f32_e32 v26, 0x3f5db3d7, v48
	v_fma_f32 v7, v54, v7, -v41
	v_fma_f32 v5, v56, v11, -v43
	v_fmac_f32_e32 v53, v64, v18
	v_fmac_f32_e32 v57, v66, v30
	v_add_f32_e32 v11, v34, v36
	v_sub_f32_e32 v18, v34, v36
	v_dual_add_f32 v34, v4, v7 :: v_dual_add_f32 v43, v5, v9
	v_dual_sub_f32 v30, v4, v7 :: v_dual_add_f32 v31, v23, v4
	v_sub_f32_e32 v39, v5, v9
	v_add_f32_e32 v41, v25, v5
	v_add_f32_e32 v51, v6, v13
	;; [unrolled: 1-line block ×4, first 2 shown]
	v_fma_f32 v4, -0.5, v11, v20
	v_fma_f32 v5, -0.5, v14, v21
	;; [unrolled: 1-line block ×3, first 2 shown]
	v_dual_fmac_f32 v23, -0.5, v34 :: v_dual_sub_f32 v42, v42, v44
	v_add_f32_e32 v50, v27, v6
	v_add_f32_e32 v52, v0, v53
	;; [unrolled: 1-line block ×3, first 2 shown]
	v_fma_f32 v11, -0.5, v43, v25
	v_sub_f32_e32 v46, v46, v49
	v_sub_f32_e32 v53, v53, v57
	v_add_f32_e32 v3, v12, v3
	v_dual_add_f32 v6, v16, v40 :: v_dual_fmac_f32 v27, -0.5, v51
	v_fma_f32 v0, -0.5, v54, v0
	v_dual_fmac_f32 v1, -0.5, v58 :: v_dual_fmamk_f32 v16, v17, 0xbf5db3d7, v4
	v_dual_fmac_f32 v4, 0x3f5db3d7, v17 :: v_dual_fmamk_f32 v17, v18, 0x3f5db3d7, v5
	v_fmac_f32_e32 v5, 0xbf5db3d7, v18
	v_dual_add_f32 v7, v31, v7 :: v_dual_fmamk_f32 v18, v30, 0xbf5db3d7, v22
	v_dual_fmamk_f32 v19, v35, 0x3f5db3d7, v23 :: v_dual_fmac_f32 v22, 0x3f5db3d7, v30
	v_dual_fmac_f32 v23, 0xbf5db3d7, v35 :: v_dual_add_f32 v8, v37, v44
	v_add_f32_e32 v9, v41, v9
	v_add_f32_e32 v12, v45, v49
	;; [unrolled: 1-line block ×4, first 2 shown]
	v_dual_add_f32 v15, v56, v15 :: v_dual_fmamk_f32 v20, v39, 0xbf5db3d7, v10
	v_dual_fmac_f32 v10, 0x3f5db3d7, v39 :: v_dual_fmamk_f32 v21, v42, 0x3f5db3d7, v11
	v_fmac_f32_e32 v11, 0xbf5db3d7, v42
	v_fmamk_f32 v25, v46, 0x3f5db3d7, v27
	v_dual_fmac_f32 v27, 0xbf5db3d7, v46 :: v_dual_fmamk_f32 v30, v55, 0xbf5db3d7, v0
	v_dual_fmac_f32 v0, 0x3f5db3d7, v55 :: v_dual_fmamk_f32 v31, v53, 0x3f5db3d7, v1
	v_fmac_f32_e32 v1, 0xbf5db3d7, v53
	ds_store_2addr_b64 v173, v[2:3], v[16:17] offset1:125
	ds_store_b64 v173, v[4:5] offset:2000
	ds_store_2addr_b64 v177, v[6:7], v[18:19] offset1:125
	ds_store_b64 v177, v[22:23] offset:2000
	;; [unrolled: 2-line block ×5, first 2 shown]
	global_wb scope:SCOPE_SE
	s_wait_dscnt 0x0
	s_barrier_signal -1
	s_barrier_wait -1
	global_inv scope:SCOPE_SE
	ds_load_2addr_b64 v[4:7], v160 offset0:4 offset1:229
	ds_load_2addr_b64 v[8:11], v161 offset0:10 offset1:235
	;; [unrolled: 1-line block ×3, first 2 shown]
	v_add_co_u32 v0, vcc_lo, v32, v28
	ds_load_2addr_b64 v[16:19], v165 offset0:12 offset1:237
	s_wait_alu 0xfffd
	v_add_co_ci_u32_e32 v1, vcc_lo, v33, v29, vcc_lo
	ds_load_2addr_b64 v[20:23], v162 offset0:8 offset1:233
	ds_load_2addr_b64 v[24:27], v159 offset1:225
	ds_load_2addr_b64 v[28:31], v163 offset0:2 offset1:227
	ds_load_b64 v[32:33], v159 offset:25200
	global_wb scope:SCOPE_SE
	s_wait_dscnt 0x0
	s_barrier_signal -1
	s_barrier_wait -1
	global_inv scope:SCOPE_SE
	v_add_co_u32 v2, vcc_lo, v0, s0
	s_wait_alu 0xfffd
	v_add_co_ci_u32_e32 v3, vcc_lo, s1, v1, vcc_lo
	v_mul_f32_e32 v34, v69, v7
	v_dual_mul_f32 v35, v69, v6 :: v_dual_mul_f32 v36, v71, v9
	v_dual_mul_f32 v37, v71, v8 :: v_dual_mul_f32 v38, v85, v13
	;; [unrolled: 1-line block ×9, first 2 shown]
	v_dual_mul_f32 v53, v75, v32 :: v_dual_fmac_f32 v34, v68, v6
	v_fma_f32 v6, v68, v7, -v35
	v_fmac_f32_e32 v36, v70, v8
	v_fma_f32 v7, v70, v9, -v37
	v_fmac_f32_e32 v38, v84, v12
	;; [unrolled: 2-line block ×9, first 2 shown]
	v_fma_f32 v19, v74, v33, -v53
	v_add_f32_e32 v15, v34, v36
	v_add_f32_e32 v18, v6, v7
	;; [unrolled: 1-line block ×3, first 2 shown]
	v_sub_f32_e32 v22, v34, v36
	v_add_f32_e32 v20, v26, v38
	v_dual_add_f32 v23, v38, v40 :: v_dual_add_f32 v34, v8, v11
	v_sub_f32_e32 v35, v38, v40
	v_dual_add_f32 v38, v42, v44 :: v_dual_add_f32 v43, v9, v13
	v_dual_add_f32 v16, v25, v6 :: v_dual_add_f32 v47, v46, v48
	v_add_f32_e32 v53, v10, v17
	v_dual_add_f32 v55, v50, v52 :: v_dual_add_f32 v58, v12, v19
	v_sub_f32_e32 v21, v6, v7
	v_dual_sub_f32 v32, v8, v11 :: v_dual_add_f32 v33, v27, v8
	v_sub_f32_e32 v39, v9, v13
	v_add_f32_e32 v41, v29, v9
	v_fma_f32 v8, -0.5, v15, v24
	v_fma_f32 v9, -0.5, v18, v25
	v_dual_add_f32 v37, v28, v42 :: v_dual_sub_f32 v42, v42, v44
	v_add_f32_e32 v45, v30, v46
	v_add_f32_e32 v51, v31, v10
	v_dual_add_f32 v54, v4, v50 :: v_dual_add_f32 v57, v5, v12
	v_add_f32_e32 v6, v14, v36
	v_fma_f32 v26, -0.5, v23, v26
	v_fmac_f32_e32 v27, -0.5, v34
	v_fma_f32 v14, -0.5, v38, v28
	v_fma_f32 v15, -0.5, v43, v29
	v_sub_f32_e32 v49, v10, v17
	v_sub_f32_e32 v46, v46, v48
	;; [unrolled: 1-line block ×3, first 2 shown]
	v_dual_sub_f32 v50, v50, v52 :: v_dual_add_f32 v7, v16, v7
	v_fma_f32 v30, -0.5, v47, v30
	v_fmac_f32_e32 v31, -0.5, v53
	v_fma_f32 v4, -0.5, v55, v4
	v_dual_fmac_f32 v5, -0.5, v58 :: v_dual_add_f32 v10, v20, v40
	v_fmamk_f32 v20, v21, 0xbf5db3d7, v8
	v_dual_fmac_f32 v8, 0x3f5db3d7, v21 :: v_dual_fmamk_f32 v21, v22, 0x3f5db3d7, v9
	v_fmac_f32_e32 v9, 0xbf5db3d7, v22
	v_add_f32_e32 v11, v33, v11
	v_add_f32_e32 v12, v37, v44
	v_add_f32_e32 v13, v41, v13
	v_dual_add_f32 v16, v45, v48 :: v_dual_add_f32 v17, v51, v17
	v_dual_add_f32 v18, v54, v52 :: v_dual_add_f32 v19, v57, v19
	v_fmamk_f32 v22, v32, 0xbf5db3d7, v26
	v_fmamk_f32 v23, v35, 0x3f5db3d7, v27
	;; [unrolled: 1-line block ×3, first 2 shown]
	v_dual_fmac_f32 v14, 0x3f5db3d7, v39 :: v_dual_fmamk_f32 v25, v42, 0x3f5db3d7, v15
	v_fmac_f32_e32 v15, 0xbf5db3d7, v42
	v_fmac_f32_e32 v26, 0x3f5db3d7, v32
	v_dual_fmac_f32 v27, 0xbf5db3d7, v35 :: v_dual_fmamk_f32 v28, v49, 0xbf5db3d7, v30
	v_dual_fmac_f32 v30, 0x3f5db3d7, v49 :: v_dual_fmamk_f32 v29, v46, 0x3f5db3d7, v31
	;; [unrolled: 1-line block ×4, first 2 shown]
	v_fmac_f32_e32 v5, 0xbf5db3d7, v50
	ds_store_b64 v159, v[6:7]
	ds_store_b64 v159, v[20:21] offset:3000
	ds_store_b64 v159, v[8:9] offset:6000
	ds_store_b64 v180, v[10:11]
	ds_store_b64 v180, v[22:23] offset:3000
	ds_store_b64 v180, v[26:27] offset:6000
	;; [unrolled: 1-line block ×5, first 2 shown]
	ds_store_b64 v179, v[16:17]
	ds_store_b64 v179, v[28:29] offset:3000
	ds_store_b64 v179, v[30:31] offset:6000
	;; [unrolled: 1-line block ×5, first 2 shown]
	global_wb scope:SCOPE_SE
	s_wait_dscnt 0x0
	s_barrier_signal -1
	s_barrier_wait -1
	global_inv scope:SCOPE_SE
	ds_load_2addr_b64 v[10:13], v160 offset0:4 offset1:229
	ds_load_2addr_b64 v[14:17], v161 offset0:10 offset1:235
	ds_load_2addr_b64 v[18:21], v164 offset0:6 offset1:231
	ds_load_2addr_b64 v[22:25], v165 offset0:12 offset1:237
	ds_load_2addr_b64 v[26:29], v162 offset0:8 offset1:233
	ds_load_2addr_b64 v[30:33], v159 offset1:225
	ds_load_b64 v[38:39], v159 offset:25200
	ds_load_2addr_b64 v[34:37], v163 offset0:2 offset1:227
	v_add_co_u32 v4, vcc_lo, v2, s0
	s_wait_alu 0xfffd
	v_add_co_ci_u32_e32 v5, vcc_lo, s1, v3, vcc_lo
	s_delay_alu instid0(VALU_DEP_2) | instskip(SKIP_1) | instid1(VALU_DEP_2)
	v_add_co_u32 v6, vcc_lo, v4, s0
	s_wait_alu 0xfffd
	v_add_co_ci_u32_e32 v7, vcc_lo, s1, v5, vcc_lo
	s_delay_alu instid0(VALU_DEP_2) | instskip(SKIP_1) | instid1(VALU_DEP_2)
	v_add_co_u32 v8, vcc_lo, v6, s0
	s_wait_alu 0xfffd
	v_add_co_ci_u32_e32 v9, vcc_lo, s1, v7, vcc_lo
	s_wait_dscnt 0x7
	v_mul_f32_e32 v40, v89, v13
	s_wait_dscnt 0x6
	v_dual_mul_f32 v41, v89, v12 :: v_dual_mul_f32 v42, v91, v15
	s_wait_dscnt 0x5
	v_dual_mul_f32 v43, v91, v14 :: v_dual_mul_f32 v44, v101, v19
	v_dual_mul_f32 v45, v101, v18 :: v_dual_mul_f32 v46, v103, v17
	;; [unrolled: 1-line block ×3, first 2 shown]
	s_wait_dscnt 0x4
	v_dual_mul_f32 v49, v97, v20 :: v_dual_mul_f32 v50, v99, v23
	s_wait_dscnt 0x3
	v_dual_mul_f32 v51, v99, v22 :: v_dual_mul_f32 v52, v93, v27
	v_dual_mul_f32 v53, v93, v26 :: v_dual_mul_f32 v54, v95, v25
	;; [unrolled: 1-line block ×3, first 2 shown]
	s_wait_dscnt 0x1
	v_dual_mul_f32 v57, v105, v28 :: v_dual_mul_f32 v58, v107, v39
	v_dual_mul_f32 v59, v107, v38 :: v_dual_fmac_f32 v40, v88, v12
	v_fma_f32 v12, v88, v13, -v41
	v_fmac_f32_e32 v42, v90, v14
	v_fma_f32 v13, v90, v15, -v43
	v_fmac_f32_e32 v44, v100, v18
	;; [unrolled: 2-line block ×9, first 2 shown]
	v_fma_f32 v25, v106, v39, -v59
	v_add_f32_e32 v21, v40, v42
	v_add_f32_e32 v24, v12, v13
	;; [unrolled: 1-line block ×3, first 2 shown]
	v_sub_f32_e32 v28, v40, v42
	v_add_f32_e32 v26, v32, v44
	v_dual_add_f32 v29, v44, v46 :: v_dual_add_f32 v40, v14, v17
	v_sub_f32_e32 v41, v44, v46
	v_dual_add_f32 v44, v48, v50 :: v_dual_add_f32 v49, v15, v19
	v_sub_f32_e32 v27, v12, v13
	v_dual_sub_f32 v38, v14, v17 :: v_dual_add_f32 v39, v33, v14
	v_sub_f32_e32 v45, v15, v19
	s_wait_dscnt 0x0
	v_add_f32_e32 v47, v35, v15
	v_add_f32_e32 v53, v52, v54
	;; [unrolled: 1-line block ×3, first 2 shown]
	v_dual_add_f32 v61, v56, v58 :: v_dual_add_f32 v64, v18, v25
	v_fma_f32 v14, -0.5, v21, v30
	v_fma_f32 v15, -0.5, v24, v31
	v_add_f32_e32 v22, v31, v12
	v_dual_add_f32 v43, v34, v48 :: v_dual_sub_f32 v48, v48, v50
	v_add_f32_e32 v12, v20, v42
	v_fma_f32 v32, -0.5, v29, v32
	v_fmac_f32_e32 v33, -0.5, v40
	v_fma_f32 v20, -0.5, v44, v34
	v_fma_f32 v21, -0.5, v49, v35
	v_add_f32_e32 v51, v36, v52
	v_add_f32_e32 v57, v37, v16
	v_sub_f32_e32 v55, v16, v23
	v_sub_f32_e32 v52, v52, v54
	v_add_f32_e32 v60, v10, v56
	v_dual_sub_f32 v62, v18, v25 :: v_dual_add_f32 v63, v11, v18
	v_sub_f32_e32 v56, v56, v58
	v_add_f32_e32 v16, v26, v46
	v_fma_f32 v36, -0.5, v53, v36
	v_fmac_f32_e32 v37, -0.5, v59
	v_fma_f32 v10, -0.5, v61, v10
	v_dual_fmac_f32 v11, -0.5, v64 :: v_dual_fmamk_f32 v26, v27, 0xbf5db3d7, v14
	v_dual_fmac_f32 v14, 0x3f5db3d7, v27 :: v_dual_fmamk_f32 v27, v28, 0x3f5db3d7, v15
	v_fmac_f32_e32 v15, 0xbf5db3d7, v28
	v_add_f32_e32 v13, v22, v13
	v_dual_add_f32 v17, v39, v17 :: v_dual_fmamk_f32 v28, v38, 0xbf5db3d7, v32
	v_fmamk_f32 v29, v41, 0x3f5db3d7, v33
	v_fmamk_f32 v30, v45, 0xbf5db3d7, v20
	v_dual_fmamk_f32 v31, v48, 0x3f5db3d7, v21 :: v_dual_add_f32 v18, v43, v50
	v_add_f32_e32 v19, v47, v19
	v_dual_add_f32 v22, v51, v54 :: v_dual_add_f32 v23, v57, v23
	v_fmac_f32_e32 v32, 0x3f5db3d7, v38
	v_fmac_f32_e32 v33, 0xbf5db3d7, v41
	;; [unrolled: 1-line block ×3, first 2 shown]
	v_dual_fmac_f32 v21, 0xbf5db3d7, v48 :: v_dual_add_f32 v24, v60, v58
	v_add_f32_e32 v25, v63, v25
	v_fmamk_f32 v34, v55, 0xbf5db3d7, v36
	v_dual_fmac_f32 v36, 0x3f5db3d7, v55 :: v_dual_fmamk_f32 v35, v52, 0x3f5db3d7, v37
	v_dual_fmac_f32 v37, 0xbf5db3d7, v52 :: v_dual_fmamk_f32 v38, v62, 0xbf5db3d7, v10
	;; [unrolled: 1-line block ×3, first 2 shown]
	v_fmac_f32_e32 v11, 0xbf5db3d7, v56
	ds_store_b64 v159, v[26:27] offset:9000
	ds_store_b64 v159, v[14:15] offset:18000
	ds_store_2addr_b64 v159, v[12:13], v[16:17] offset1:225
	ds_store_2addr_b64 v164, v[28:29], v[30:31] offset0:6 offset1:231
	ds_store_2addr_b64 v181, v[32:33], v[20:21] offset0:11 offset1:236
	;; [unrolled: 1-line block ×3, first 2 shown]
	ds_store_b64 v159, v[36:37] offset:23400
	ds_store_b64 v159, v[24:25] offset:7200
	ds_store_2addr_b64 v162, v[34:35], v[38:39] offset0:8 offset1:233
	ds_store_b64 v159, v[10:11] offset:25200
	global_wb scope:SCOPE_SE
	s_wait_dscnt 0x0
	s_barrier_signal -1
	s_barrier_wait -1
	global_inv scope:SCOPE_SE
	ds_load_2addr_b64 v[12:15], v159 offset1:225
	ds_load_2addr_b64 v[16:19], v163 offset0:2 offset1:227
	ds_load_2addr_b64 v[20:23], v164 offset0:6 offset1:231
	;; [unrolled: 1-line block ×6, first 2 shown]
	ds_load_b64 v[42:43], v159 offset:25200
	v_mad_co_u64_u32 v[10:11], null, 0xffffb2a8, s4, v[8:9]
	s_wait_alu 0xfffe
	s_delay_alu instid0(VALU_DEP_1) | instskip(NEXT) | instid1(VALU_DEP_2)
	v_add_nc_u32_e32 v11, s2, v11
	v_add_co_u32 v40, vcc_lo, v10, s0
	s_wait_dscnt 0x7
	v_mul_f32_e32 v44, v137, v13
	v_mul_f32_e32 v45, v137, v12
	s_wait_dscnt 0x6
	v_mul_f32_e32 v46, v129, v19
	s_wait_dscnt 0x5
	v_dual_mul_f32 v47, v129, v18 :: v_dual_mul_f32 v48, v127, v21
	s_wait_dscnt 0x4
	v_dual_mul_f32 v49, v127, v20 :: v_dual_mul_f32 v50, v125, v27
	;; [unrolled: 2-line block ×3, first 2 shown]
	v_dual_mul_f32 v53, v131, v28 :: v_dual_mul_f32 v54, v133, v15
	v_dual_mul_f32 v55, v133, v14 :: v_dual_fmac_f32 v44, v136, v12
	v_fma_f32 v45, v136, v13, -v45
	s_wait_dscnt 0x2
	v_mul_f32_e32 v56, v135, v33
	v_mul_f32_e32 v57, v135, v32
	s_wait_dscnt 0x1
	v_dual_mul_f32 v61, v149, v36 :: v_dual_mul_f32 v64, v143, v17
	v_dual_mul_f32 v65, v143, v16 :: v_dual_fmac_f32 v46, v128, v18
	v_fma_f32 v18, v128, v19, -v47
	v_mul_f32_e32 v58, v139, v23
	v_dual_mul_f32 v59, v139, v22 :: v_dual_fmac_f32 v48, v126, v20
	v_fma_f32 v47, v126, v21, -v49
	v_mul_f32_e32 v60, v149, v37
	v_mul_f32_e32 v68, v151, v25
	v_dual_mul_f32 v69, v151, v24 :: v_dual_fmac_f32 v50, v124, v26
	v_fma_f32 v26, v124, v27, -v51
	v_mul_f32_e32 v62, v141, v31
	v_dual_mul_f32 v63, v141, v30 :: v_dual_fmac_f32 v52, v130, v28
	v_fma_f32 v49, v130, v29, -v53
	v_mul_f32_e32 v66, v147, v35
	v_mul_f32_e32 v67, v147, v34
	v_fmac_f32_e32 v54, v132, v14
	v_fma_f32 v51, v132, v15, -v55
	v_cvt_f64_f32_e32 v[12:13], v44
	v_cvt_f64_f32_e32 v[14:15], v45
	v_mul_f32_e32 v70, v145, v39
	v_dual_mul_f32 v71, v145, v38 :: v_dual_fmac_f32 v56, v134, v32
	v_fma_f32 v53, v134, v33, -v57
	v_fma_f32 v57, v148, v37, -v61
	v_fmac_f32_e32 v64, v142, v16
	v_fma_f32 v61, v142, v17, -v65
	v_cvt_f64_f32_e32 v[16:17], v46
	v_cvt_f64_f32_e32 v[18:19], v18
	s_wait_dscnt 0x0
	v_mul_f32_e32 v72, v153, v43
	v_mul_f32_e32 v73, v153, v42
	v_fmac_f32_e32 v58, v138, v22
	v_fma_f32 v55, v138, v23, -v59
	v_cvt_f64_f32_e32 v[20:21], v48
	v_fmac_f32_e32 v72, v152, v42
	v_cvt_f64_f32_e32 v[22:23], v47
	v_fmac_f32_e32 v60, v148, v36
	v_fmac_f32_e32 v68, v150, v24
	v_fma_f32 v65, v150, v25, -v69
	v_cvt_f64_f32_e32 v[24:25], v50
	v_cvt_f64_f32_e32 v[26:27], v26
	v_fmac_f32_e32 v62, v140, v30
	v_fma_f32 v59, v140, v31, -v63
	v_cvt_f64_f32_e32 v[28:29], v52
	v_cvt_f64_f32_e32 v[30:31], v49
	;; [unrolled: 4-line block ×4, first 2 shown]
	v_fma_f32 v73, v152, v43, -v73
	v_cvt_f64_f32_e32 v[42:43], v58
	v_cvt_f64_f32_e32 v[44:45], v55
	;; [unrolled: 1-line block ×16, first 2 shown]
	v_mul_f64_e32 v[12:13], s[6:7], v[12:13]
	v_mul_f64_e32 v[14:15], s[6:7], v[14:15]
	;; [unrolled: 1-line block ×6, first 2 shown]
	s_wait_alu 0xfffd
	v_add_co_ci_u32_e32 v41, vcc_lo, s1, v11, vcc_lo
	v_mul_f64_e32 v[24:25], s[6:7], v[24:25]
	v_mul_f64_e32 v[26:27], s[6:7], v[26:27]
	v_add_co_u32 v74, vcc_lo, v40, s0
	v_mul_f64_e32 v[28:29], s[6:7], v[28:29]
	v_mul_f64_e32 v[30:31], s[6:7], v[30:31]
	s_wait_alu 0xfffd
	v_add_co_ci_u32_e32 v75, vcc_lo, s1, v41, vcc_lo
	v_mul_f64_e32 v[32:33], s[6:7], v[32:33]
	v_mul_f64_e32 v[34:35], s[6:7], v[34:35]
	v_add_co_u32 v76, vcc_lo, v74, s0
	v_mul_f64_e32 v[36:37], s[6:7], v[36:37]
	v_mul_f64_e32 v[38:39], s[6:7], v[38:39]
	;; [unrolled: 1-line block ×18, first 2 shown]
	s_wait_alu 0xfffd
	v_add_co_ci_u32_e32 v77, vcc_lo, s1, v75, vcc_lo
	v_cvt_f32_f64_e32 v12, v[12:13]
	v_cvt_f32_f64_e32 v13, v[14:15]
	;; [unrolled: 1-line block ×6, first 2 shown]
	v_add_co_u32 v78, vcc_lo, v76, s0
	v_cvt_f32_f64_e32 v18, v[24:25]
	v_cvt_f32_f64_e32 v19, v[26:27]
	;; [unrolled: 1-line block ×4, first 2 shown]
	s_wait_alu 0xfffd
	v_add_co_ci_u32_e32 v79, vcc_lo, s1, v77, vcc_lo
	v_cvt_f32_f64_e32 v22, v[32:33]
	v_cvt_f32_f64_e32 v23, v[34:35]
	s_delay_alu instid0(VALU_DEP_3)
	v_mad_co_u64_u32 v[80:81], null, 0xffffb2a8, s4, v[78:79]
	v_cvt_f32_f64_e32 v24, v[36:37]
	v_cvt_f32_f64_e32 v25, v[38:39]
	;; [unrolled: 1-line block ×18, first 2 shown]
	v_add_nc_u32_e32 v81, s2, v81
	v_add_co_u32 v44, vcc_lo, v80, s0
	s_wait_alu 0xfffd
	s_delay_alu instid0(VALU_DEP_2) | instskip(NEXT) | instid1(VALU_DEP_2)
	v_add_co_ci_u32_e32 v45, vcc_lo, s1, v81, vcc_lo
	v_add_co_u32 v46, vcc_lo, v44, s0
	s_wait_alu 0xfffd
	s_delay_alu instid0(VALU_DEP_2) | instskip(NEXT) | instid1(VALU_DEP_2)
	v_add_co_ci_u32_e32 v47, vcc_lo, s1, v45, vcc_lo
	;; [unrolled: 4-line block ×3, first 2 shown]
	v_add_co_u32 v50, vcc_lo, v48, s0
	s_wait_alu 0xfffd
	s_delay_alu instid0(VALU_DEP_2)
	v_add_co_ci_u32_e32 v51, vcc_lo, s1, v49, vcc_lo
	s_clause 0x4
	global_store_b64 v[0:1], v[12:13], off
	global_store_b64 v[2:3], v[14:15], off
	;; [unrolled: 1-line block ×15, first 2 shown]
.LBB0_2:
	s_nop 0
	s_sendmsg sendmsg(MSG_DEALLOC_VGPRS)
	s_endpgm
	.section	.rodata,"a",@progbits
	.p2align	6, 0x0
	.amdhsa_kernel bluestein_single_back_len3375_dim1_sp_op_CI_CI
		.amdhsa_group_segment_fixed_size 27000
		.amdhsa_private_segment_fixed_size 0
		.amdhsa_kernarg_size 104
		.amdhsa_user_sgpr_count 2
		.amdhsa_user_sgpr_dispatch_ptr 0
		.amdhsa_user_sgpr_queue_ptr 0
		.amdhsa_user_sgpr_kernarg_segment_ptr 1
		.amdhsa_user_sgpr_dispatch_id 0
		.amdhsa_user_sgpr_private_segment_size 0
		.amdhsa_wavefront_size32 1
		.amdhsa_uses_dynamic_stack 0
		.amdhsa_enable_private_segment 0
		.amdhsa_system_sgpr_workgroup_id_x 1
		.amdhsa_system_sgpr_workgroup_id_y 0
		.amdhsa_system_sgpr_workgroup_id_z 0
		.amdhsa_system_sgpr_workgroup_info 0
		.amdhsa_system_vgpr_workitem_id 0
		.amdhsa_next_free_vgpr 228
		.amdhsa_next_free_sgpr 20
		.amdhsa_reserve_vcc 1
		.amdhsa_float_round_mode_32 0
		.amdhsa_float_round_mode_16_64 0
		.amdhsa_float_denorm_mode_32 3
		.amdhsa_float_denorm_mode_16_64 3
		.amdhsa_fp16_overflow 0
		.amdhsa_workgroup_processor_mode 1
		.amdhsa_memory_ordered 1
		.amdhsa_forward_progress 0
		.amdhsa_round_robin_scheduling 0
		.amdhsa_exception_fp_ieee_invalid_op 0
		.amdhsa_exception_fp_denorm_src 0
		.amdhsa_exception_fp_ieee_div_zero 0
		.amdhsa_exception_fp_ieee_overflow 0
		.amdhsa_exception_fp_ieee_underflow 0
		.amdhsa_exception_fp_ieee_inexact 0
		.amdhsa_exception_int_div_zero 0
	.end_amdhsa_kernel
	.text
.Lfunc_end0:
	.size	bluestein_single_back_len3375_dim1_sp_op_CI_CI, .Lfunc_end0-bluestein_single_back_len3375_dim1_sp_op_CI_CI
                                        ; -- End function
	.section	.AMDGPU.csdata,"",@progbits
; Kernel info:
; codeLenInByte = 18584
; NumSgprs: 22
; NumVgprs: 228
; ScratchSize: 0
; MemoryBound: 0
; FloatMode: 240
; IeeeMode: 1
; LDSByteSize: 27000 bytes/workgroup (compile time only)
; SGPRBlocks: 2
; VGPRBlocks: 28
; NumSGPRsForWavesPerEU: 22
; NumVGPRsForWavesPerEU: 228
; Occupancy: 6
; WaveLimiterHint : 1
; COMPUTE_PGM_RSRC2:SCRATCH_EN: 0
; COMPUTE_PGM_RSRC2:USER_SGPR: 2
; COMPUTE_PGM_RSRC2:TRAP_HANDLER: 0
; COMPUTE_PGM_RSRC2:TGID_X_EN: 1
; COMPUTE_PGM_RSRC2:TGID_Y_EN: 0
; COMPUTE_PGM_RSRC2:TGID_Z_EN: 0
; COMPUTE_PGM_RSRC2:TIDIG_COMP_CNT: 0
	.text
	.p2alignl 7, 3214868480
	.fill 96, 4, 3214868480
	.type	__hip_cuid_2ad2eee596543cc7,@object ; @__hip_cuid_2ad2eee596543cc7
	.section	.bss,"aw",@nobits
	.globl	__hip_cuid_2ad2eee596543cc7
__hip_cuid_2ad2eee596543cc7:
	.byte	0                               ; 0x0
	.size	__hip_cuid_2ad2eee596543cc7, 1

	.ident	"AMD clang version 19.0.0git (https://github.com/RadeonOpenCompute/llvm-project roc-6.4.0 25133 c7fe45cf4b819c5991fe208aaa96edf142730f1d)"
	.section	".note.GNU-stack","",@progbits
	.addrsig
	.addrsig_sym __hip_cuid_2ad2eee596543cc7
	.amdgpu_metadata
---
amdhsa.kernels:
  - .args:
      - .actual_access:  read_only
        .address_space:  global
        .offset:         0
        .size:           8
        .value_kind:     global_buffer
      - .actual_access:  read_only
        .address_space:  global
        .offset:         8
        .size:           8
        .value_kind:     global_buffer
      - .actual_access:  read_only
        .address_space:  global
        .offset:         16
        .size:           8
        .value_kind:     global_buffer
      - .actual_access:  read_only
        .address_space:  global
        .offset:         24
        .size:           8
        .value_kind:     global_buffer
      - .actual_access:  read_only
        .address_space:  global
        .offset:         32
        .size:           8
        .value_kind:     global_buffer
      - .offset:         40
        .size:           8
        .value_kind:     by_value
      - .address_space:  global
        .offset:         48
        .size:           8
        .value_kind:     global_buffer
      - .address_space:  global
        .offset:         56
        .size:           8
        .value_kind:     global_buffer
      - .address_space:  global
        .offset:         64
        .size:           8
        .value_kind:     global_buffer
      - .address_space:  global
        .offset:         72
        .size:           8
        .value_kind:     global_buffer
      - .offset:         80
        .size:           4
        .value_kind:     by_value
      - .address_space:  global
        .offset:         88
        .size:           8
        .value_kind:     global_buffer
      - .address_space:  global
        .offset:         96
        .size:           8
        .value_kind:     global_buffer
    .group_segment_fixed_size: 27000
    .kernarg_segment_align: 8
    .kernarg_segment_size: 104
    .language:       OpenCL C
    .language_version:
      - 2
      - 0
    .max_flat_workgroup_size: 225
    .name:           bluestein_single_back_len3375_dim1_sp_op_CI_CI
    .private_segment_fixed_size: 0
    .sgpr_count:     22
    .sgpr_spill_count: 0
    .symbol:         bluestein_single_back_len3375_dim1_sp_op_CI_CI.kd
    .uniform_work_group_size: 1
    .uses_dynamic_stack: false
    .vgpr_count:     228
    .vgpr_spill_count: 0
    .wavefront_size: 32
    .workgroup_processor_mode: 1
amdhsa.target:   amdgcn-amd-amdhsa--gfx1201
amdhsa.version:
  - 1
  - 2
...

	.end_amdgpu_metadata
